;; amdgpu-corpus repo=ROCm/aiter kind=harvested arch=n/a opt=n/a

/root/src/amdgpu-assembly/repos/ROCm__aiter/hsa/gfx950/fmoe_2stages/fmoe_stage1_bf16_pertokenInt8_g1u1_128x128_pf3.co:	file format elf64-amdgpu

Disassembly of section .text:

0000000000002a00 <_ZN5aiter46fmoe_stage1_bf16_pertokenInt8_g1u1_128x128_pf3E>:
	s_and_b32 s1, s1, 0xffff                                   // 000000002A00: 8601FF01 0000FFFF
	s_load_dwordx2 s[8:9], s[0:1], 0x0                         // 000000002A08: C0060200 00000000
	s_load_dwordx2 s[20:21], s[0:1], 0x10                      // 000000002A10: C0060500 00000010
	s_load_dwordx2 s[24:25], s[0:1], 0x20                      // 000000002A18: C0060600 00000020
	s_load_dwordx2 s[48:49], s[0:1], 0x30                      // 000000002A20: C0060C00 00000030
	s_load_dwordx2 s[28:29], s[0:1], 0x40                      // 000000002A28: C0060700 00000040
	s_load_dwordx2 s[32:33], s[0:1], 0x50                      // 000000002A30: C0060800 00000050
	s_load_dwordx2 s[36:37], s[0:1], 0x60                      // 000000002A38: C0060900 00000060
	s_load_dwordx2 s[12:13], s[0:1], 0x70                      // 000000002A40: C0060300 00000070
	s_load_dwordx2 s[44:45], s[0:1], 0x80                      // 000000002A48: C0060B00 00000080
	s_mov_b32 s89, 0                                           // 000000002A50: BED90080
	s_load_dword s64, s[0:1], 0x90                             // 000000002A54: C0021000 00000090
	s_load_dword s65, s[0:1], 0xa0                             // 000000002A5C: C0021040 000000A0
	s_load_dword s66, s[0:1], 0xb0                             // 000000002A64: C0021080 000000B0
	s_load_dword s67, s[0:1], 0xc0                             // 000000002A6C: C00210C0 000000C0
	s_load_dword s68, s[0:1], 0xd0                             // 000000002A74: C0021100 000000D0
	s_load_dword s69, s[0:1], 0xe0                             // 000000002A7C: C0021140 000000E0
	s_load_dword s71, s[0:1], 0xf0                             // 000000002A84: C00211C0 000000F0
	s_load_dword s72, s[0:1], 0x100                            // 000000002A8C: C0021200 00000100
	s_load_dword s74, s[0:1], 0x110                            // 000000002A94: C0021280 00000110
	s_load_dword s76, s[0:1], 0x120                            // 000000002A9C: C0021300 00000120
	s_load_dword s56, s[0:1], 0x130                            // 000000002AA4: C0020E00 00000130
	s_load_dword s88, s[0:1], 0x140                            // 000000002AAC: C0021600 00000140
	s_load_dword s89, s[0:1], 0x150                            // 000000002AB4: C0021640 00000150
	v_lshrrev_b32_e32 v1, 10, v0                               // 000000002ABC: 2002008A
	v_lshrrev_b32_e32 v2, 10, v1                               // 000000002AC0: 2004028A
	v_and_b32_e32 v2, 0x3ff, v2                                // 000000002AC4: 260404FF 000003FF
	v_and_b32_e32 v1, 0x3ff, v1                                // 000000002ACC: 260202FF 000003FF
	v_and_b32_e32 v0, 0x3ff, v0                                // 000000002AD4: 260000FF 000003FF
	v_lshrrev_b32_e32 v3, 6, v0                                // 000000002ADC: 20060086
	v_and_b32_e32 v0, 63, v0                                   // 000000002AE0: 260000BF
	s_mov_b32 s2, s2                                           // 000000002AE4: BE820002
	s_mov_b32 s3, s3                                           // 000000002AE8: BE830003
	s_mov_b32 s4, s4                                           // 000000002AEC: BE840004
	v_readfirstlane_b32 s7, v3                                 // 000000002AF0: 7E0E0503
	s_waitcnt lgkmcnt(0)                                       // 000000002AF4: BF8CC07F
	s_and_b32 s49, s49, 0xffff                                 // 000000002AF8: 8631FF31 0000FFFF
	s_load_dword s48, s[48:49], 0x0                            // 000000002B00: C0020C18 00000000
	s_and_b32 s45, s45, 0xffff                                 // 000000002B08: 862DFF2D 0000FFFF
	s_and_b32 s9, s9, 0xffff                                   // 000000002B10: 8609FF09 0000FFFF
	s_mul_i32 s60, s66, s68                                    // 000000002B18: 923C4442
	s_mul_i32 s61, s66, 4                                      // 000000002B1C: 923D8442
	s_mov_b32 s22, s60                                         // 000000002B20: BE96003C
	s_mov_b32 s26, -16                                         // 000000002B24: BE9A00D0
	s_mov_b32 s30, s61                                         // 000000002B28: BE9E003D
	s_mov_b32 s14, 0x200                                       // 000000002B2C: BE8E00FF 00000200
	s_mov_b32 s38, -16                                         // 000000002B34: BEA600D0
	s_mov_b32 s10, -16                                         // 000000002B38: BE8A00D0
	s_mov_b32 s34, 0x200                                       // 000000002B3C: BEA200FF 00000200
	s_mov_b32 s23, 0x20000                                     // 000000002B44: BE9700FF 00020000
	s_mov_b32 s27, 0x20000                                     // 000000002B4C: BE9B00FF 00020000
	s_mov_b32 s31, 0x20000                                     // 000000002B54: BE9F00FF 00020000
	s_mov_b32 s35, 0x20000                                     // 000000002B5C: BEA300FF 00020000
	s_mov_b32 s15, 0x20000                                     // 000000002B64: BE8F00FF 00020000
	s_mov_b32 s39, 0x20000                                     // 000000002B6C: BEA700FF 00020000
	s_mov_b32 s11, 0x20000                                     // 000000002B74: BE8B00FF 00020000
	s_and_b32 s21, s21, 0xffff                                 // 000000002B7C: 8615FF15 0000FFFF
	s_and_b32 s25, s25, 0xffff                                 // 000000002B84: 8619FF19 0000FFFF
	s_and_b32 s29, s29, 0xffff                                 // 000000002B8C: 861DFF1D 0000FFFF
	s_and_b32 s33, s33, 0xffff                                 // 000000002B94: 8621FF21 0000FFFF
	s_and_b32 s13, s13, 0xffff                                 // 000000002B9C: 860DFF0D 0000FFFF
	s_and_b32 s37, s37, 0xffff                                 // 000000002BA4: 8625FF25 0000FFFF
	s_or_b32 s21, s21, 0x40000                                 // 000000002BAC: 8715FF15 00040000
	s_or_b32 s25, s25, 0x40000                                 // 000000002BB4: 8719FF19 00040000
	s_or_b32 s29, s29, 0x40000                                 // 000000002BBC: 871DFF1D 00040000
	s_or_b32 s33, s33, 0x40000                                 // 000000002BC4: 8721FF21 00040000
	s_or_b32 s13, s13, 0x40000                                 // 000000002BCC: 870DFF0D 00040000
	s_or_b32 s37, s37, 0x40000                                 // 000000002BD4: 8725FF25 00040000
	v_accvgpr_write_b32 a175, 0                                // 000000002BDC: D3D940AF 18000080
	v_mov_b32_e32 v207, 0                                      // 000000002BE4: 7F9E0280
	s_waitcnt lgkmcnt(0)                                       // 000000002BE8: BF8CC07F
	s_mul_i32 s60, s3, 0x80                                    // 000000002BEC: 923CFF03 00000080
	s_cmp_lt_i32 s60, s48                                      // 000000002BF4: BF04303C
	s_cbranch_scc0 label_3CEE                                  // 000000002BF8: BF843C6C
	s_mov_b32 s80, 0                                           // 000000002BFC: BED00080
	s_lshr_b32 s81, s64, s88                                   // 000000002C00: 8F515840
	s_mul_i32 s60, s3, 4                                       // 000000002C04: 923C8403
	s_add_u32 s44, s60, s44                                    // 000000002C08: 802C2C3C
	s_addc_u32 s45, 0, s45                                     // 000000002C0C: 822D2D80
	s_load_dword s5, s[44:45], 0x0                             // 000000002C10: C0020156 00000000
	s_mul_i32 s60, s3, 0x80                                    // 000000002C18: 923CFF03 00000080
	s_mul_i32 s60, 4, s60                                      // 000000002C20: 923C3C84
	s_add_u32 s12, s60, s12                                    // 000000002C24: 800C0C3C
	s_addc_u32 s13, 0, s13                                     // 000000002C28: 820D0D80
	v_and_b32_e32 v4, 15, v0                                   // 000000002C2C: 2608008F
	v_lshlrev_b32_e32 v4, 2, v4                                // 000000002C30: 24080882
	buffer_load_dword v30, v4, s[12:15], 0 offen               // 000000002C34: E0501000 80031E04
	v_add_u32_e32 v4, 64, v4                                   // 000000002C3C: 680808C0
	buffer_load_dword v31, v4, s[12:15], 0 offen               // 000000002C40: E0501000 80031F04
	v_add_u32_e32 v4, 64, v4                                   // 000000002C48: 680808C0
	buffer_load_dword v32, v4, s[12:15], 0 offen               // 000000002C4C: E0501000 80032004
	v_add_u32_e32 v4, 64, v4                                   // 000000002C54: 680808C0
	buffer_load_dword v33, v4, s[12:15], 0 offen               // 000000002C58: E0501000 80032104
	v_add_u32_e32 v4, 64, v4                                   // 000000002C60: 680808C0
	buffer_load_dword v34, v4, s[12:15], 0 offen               // 000000002C64: E0501000 80032204
	v_add_u32_e32 v4, 64, v4                                   // 000000002C6C: 680808C0
	buffer_load_dword v35, v4, s[12:15], 0 offen               // 000000002C70: E0501000 80032304
	v_add_u32_e32 v4, 64, v4                                   // 000000002C78: 680808C0
	buffer_load_dword v36, v4, s[12:15], 0 offen               // 000000002C7C: E0501000 80032404
	v_add_u32_e32 v4, 64, v4                                   // 000000002C84: 680808C0
	buffer_load_dword v37, v4, s[12:15], 0 offen               // 000000002C88: E0501000 80032504
	v_add_u32_e32 v4, 64, v4                                   // 000000002C90: 680808C0
	s_mul_i32 s60, 4, s7                                       // 000000002C94: 923C0784
	v_lshlrev_b32_e32 v4, 4, v0                                // 000000002C98: 24080084
	v_add_u32_e32 v4, s60, v4                                  // 000000002C9C: 6808083C
	buffer_load_dword v3, v4, s[12:15], 0 offen                // 000000002CA0: E0501000 80030304
	v_mov_b32_e32 v80, 0                                       // 000000002CA8: 7EA00280
	v_mov_b32_e32 v144, 0                                      // 000000002CAC: 7F200280
	v_mov_b32_e32 v81, 0                                       // 000000002CB0: 7EA20280
	v_mov_b32_e32 v145, 0                                      // 000000002CB4: 7F220280
	v_mov_b32_e32 v82, 0                                       // 000000002CB8: 7EA40280
	v_mov_b32_e32 v146, 0                                      // 000000002CBC: 7F240280
	v_mov_b32_e32 v83, 0                                       // 000000002CC0: 7EA60280
	v_mov_b32_e32 v147, 0                                      // 000000002CC4: 7F260280
	v_mov_b32_e32 v84, 0                                       // 000000002CC8: 7EA80280
	v_mov_b32_e32 v148, 0                                      // 000000002CCC: 7F280280
	v_mov_b32_e32 v85, 0                                       // 000000002CD0: 7EAA0280
	v_mov_b32_e32 v149, 0                                      // 000000002CD4: 7F2A0280
	v_mov_b32_e32 v86, 0                                       // 000000002CD8: 7EAC0280
	v_mov_b32_e32 v150, 0                                      // 000000002CDC: 7F2C0280
	v_mov_b32_e32 v87, 0                                       // 000000002CE0: 7EAE0280
	v_mov_b32_e32 v151, 0                                      // 000000002CE4: 7F2E0280
	v_mov_b32_e32 v88, 0                                       // 000000002CE8: 7EB00280
	v_mov_b32_e32 v152, 0                                      // 000000002CEC: 7F300280
	v_mov_b32_e32 v89, 0                                       // 000000002CF0: 7EB20280
	v_mov_b32_e32 v153, 0                                      // 000000002CF4: 7F320280
	v_mov_b32_e32 v90, 0                                       // 000000002CF8: 7EB40280
	v_mov_b32_e32 v154, 0                                      // 000000002CFC: 7F340280
	v_mov_b32_e32 v91, 0                                       // 000000002D00: 7EB60280
	v_mov_b32_e32 v155, 0                                      // 000000002D04: 7F360280
	v_mov_b32_e32 v92, 0                                       // 000000002D08: 7EB80280
	v_mov_b32_e32 v156, 0                                      // 000000002D0C: 7F380280
	v_mov_b32_e32 v93, 0                                       // 000000002D10: 7EBA0280
	v_mov_b32_e32 v157, 0                                      // 000000002D14: 7F3A0280
	v_mov_b32_e32 v94, 0                                       // 000000002D18: 7EBC0280
	v_mov_b32_e32 v158, 0                                      // 000000002D1C: 7F3C0280
	v_mov_b32_e32 v95, 0                                       // 000000002D20: 7EBE0280
	v_mov_b32_e32 v159, 0                                      // 000000002D24: 7F3E0280
	v_mov_b32_e32 v96, 0                                       // 000000002D28: 7EC00280
	v_mov_b32_e32 v160, 0                                      // 000000002D2C: 7F400280
	v_mov_b32_e32 v97, 0                                       // 000000002D30: 7EC20280
	v_mov_b32_e32 v161, 0                                      // 000000002D34: 7F420280
	v_mov_b32_e32 v98, 0                                       // 000000002D38: 7EC40280
	v_mov_b32_e32 v162, 0                                      // 000000002D3C: 7F440280
	v_mov_b32_e32 v99, 0                                       // 000000002D40: 7EC60280
	v_mov_b32_e32 v163, 0                                      // 000000002D44: 7F460280
	v_mov_b32_e32 v100, 0                                      // 000000002D48: 7EC80280
	v_mov_b32_e32 v164, 0                                      // 000000002D4C: 7F480280
	v_mov_b32_e32 v101, 0                                      // 000000002D50: 7ECA0280
	v_mov_b32_e32 v165, 0                                      // 000000002D54: 7F4A0280
	v_mov_b32_e32 v102, 0                                      // 000000002D58: 7ECC0280
	v_mov_b32_e32 v166, 0                                      // 000000002D5C: 7F4C0280
	v_mov_b32_e32 v103, 0                                      // 000000002D60: 7ECE0280
	v_mov_b32_e32 v167, 0                                      // 000000002D64: 7F4E0280
	v_mov_b32_e32 v104, 0                                      // 000000002D68: 7ED00280
	v_mov_b32_e32 v168, 0                                      // 000000002D6C: 7F500280
	v_mov_b32_e32 v105, 0                                      // 000000002D70: 7ED20280
	v_mov_b32_e32 v169, 0                                      // 000000002D74: 7F520280
	v_mov_b32_e32 v106, 0                                      // 000000002D78: 7ED40280
	v_mov_b32_e32 v170, 0                                      // 000000002D7C: 7F540280
	v_mov_b32_e32 v107, 0                                      // 000000002D80: 7ED60280
	v_mov_b32_e32 v171, 0                                      // 000000002D84: 7F560280
	v_mov_b32_e32 v108, 0                                      // 000000002D88: 7ED80280
	v_mov_b32_e32 v172, 0                                      // 000000002D8C: 7F580280
	v_mov_b32_e32 v109, 0                                      // 000000002D90: 7EDA0280
	v_mov_b32_e32 v173, 0                                      // 000000002D94: 7F5A0280
	v_mov_b32_e32 v110, 0                                      // 000000002D98: 7EDC0280
	v_mov_b32_e32 v174, 0                                      // 000000002D9C: 7F5C0280
	v_mov_b32_e32 v111, 0                                      // 000000002DA0: 7EDE0280
	v_mov_b32_e32 v175, 0                                      // 000000002DA4: 7F5E0280
	v_mov_b32_e32 v112, 0                                      // 000000002DA8: 7EE00280
	v_mov_b32_e32 v176, 0                                      // 000000002DAC: 7F600280
	v_mov_b32_e32 v113, 0                                      // 000000002DB0: 7EE20280
	v_mov_b32_e32 v177, 0                                      // 000000002DB4: 7F620280
	v_mov_b32_e32 v114, 0                                      // 000000002DB8: 7EE40280
	v_mov_b32_e32 v178, 0                                      // 000000002DBC: 7F640280
	v_mov_b32_e32 v115, 0                                      // 000000002DC0: 7EE60280
	v_mov_b32_e32 v179, 0                                      // 000000002DC4: 7F660280
	v_mov_b32_e32 v116, 0                                      // 000000002DC8: 7EE80280
	v_mov_b32_e32 v180, 0                                      // 000000002DCC: 7F680280
	v_mov_b32_e32 v117, 0                                      // 000000002DD0: 7EEA0280
	v_mov_b32_e32 v181, 0                                      // 000000002DD4: 7F6A0280
	v_mov_b32_e32 v118, 0                                      // 000000002DD8: 7EEC0280
	v_mov_b32_e32 v182, 0                                      // 000000002DDC: 7F6C0280
	v_mov_b32_e32 v119, 0                                      // 000000002DE0: 7EEE0280
	v_mov_b32_e32 v183, 0                                      // 000000002DE4: 7F6E0280
	v_mov_b32_e32 v120, 0                                      // 000000002DE8: 7EF00280
	v_mov_b32_e32 v184, 0                                      // 000000002DEC: 7F700280
	v_mov_b32_e32 v121, 0                                      // 000000002DF0: 7EF20280
	v_mov_b32_e32 v185, 0                                      // 000000002DF4: 7F720280
	v_mov_b32_e32 v122, 0                                      // 000000002DF8: 7EF40280
	v_mov_b32_e32 v186, 0                                      // 000000002DFC: 7F740280
	v_mov_b32_e32 v123, 0                                      // 000000002E00: 7EF60280
	v_mov_b32_e32 v187, 0                                      // 000000002E04: 7F760280
	v_mov_b32_e32 v124, 0                                      // 000000002E08: 7EF80280
	v_mov_b32_e32 v188, 0                                      // 000000002E0C: 7F780280
	v_mov_b32_e32 v125, 0                                      // 000000002E10: 7EFA0280
	v_mov_b32_e32 v189, 0                                      // 000000002E14: 7F7A0280
	v_mov_b32_e32 v126, 0                                      // 000000002E18: 7EFC0280
	v_mov_b32_e32 v190, 0                                      // 000000002E1C: 7F7C0280
	v_mov_b32_e32 v127, 0                                      // 000000002E20: 7EFE0280
	v_mov_b32_e32 v191, 0                                      // 000000002E24: 7F7E0280
	v_mov_b32_e32 v128, 0                                      // 000000002E28: 7F000280
	v_mov_b32_e32 v192, 0                                      // 000000002E2C: 7F800280
	v_mov_b32_e32 v129, 0                                      // 000000002E30: 7F020280
	v_mov_b32_e32 v193, 0                                      // 000000002E34: 7F820280
	v_mov_b32_e32 v130, 0                                      // 000000002E38: 7F040280
	v_mov_b32_e32 v194, 0                                      // 000000002E3C: 7F840280
	v_mov_b32_e32 v131, 0                                      // 000000002E40: 7F060280
	v_mov_b32_e32 v195, 0                                      // 000000002E44: 7F860280
	v_mov_b32_e32 v132, 0                                      // 000000002E48: 7F080280
	v_mov_b32_e32 v196, 0                                      // 000000002E4C: 7F880280
	v_mov_b32_e32 v133, 0                                      // 000000002E50: 7F0A0280
	v_mov_b32_e32 v197, 0                                      // 000000002E54: 7F8A0280
	v_mov_b32_e32 v134, 0                                      // 000000002E58: 7F0C0280
	v_mov_b32_e32 v198, 0                                      // 000000002E5C: 7F8C0280
	v_mov_b32_e32 v135, 0                                      // 000000002E60: 7F0E0280
	v_mov_b32_e32 v199, 0                                      // 000000002E64: 7F8E0280
	v_mov_b32_e32 v136, 0                                      // 000000002E68: 7F100280
	v_mov_b32_e32 v200, 0                                      // 000000002E6C: 7F900280
	v_mov_b32_e32 v137, 0                                      // 000000002E70: 7F120280
	v_mov_b32_e32 v201, 0                                      // 000000002E74: 7F920280
	v_mov_b32_e32 v138, 0                                      // 000000002E78: 7F140280
	v_mov_b32_e32 v202, 0                                      // 000000002E7C: 7F940280
	v_mov_b32_e32 v139, 0                                      // 000000002E80: 7F160280
	v_mov_b32_e32 v203, 0                                      // 000000002E84: 7F960280
	v_mov_b32_e32 v140, 0                                      // 000000002E88: 7F180280
	v_mov_b32_e32 v204, 0                                      // 000000002E8C: 7F980280
	v_mov_b32_e32 v141, 0                                      // 000000002E90: 7F1A0280
	v_mov_b32_e32 v205, 0                                      // 000000002E94: 7F9A0280
	v_mov_b32_e32 v142, 0                                      // 000000002E98: 7F1C0280
	v_mov_b32_e32 v206, 0                                      // 000000002E9C: 7F9C0280
	v_mov_b32_e32 v143, 0                                      // 000000002EA0: 7F1E0280
	v_mov_b32_e32 v207, 0                                      // 000000002EA4: 7F9E0280
	s_mul_i32 s60, s2, 0x100                                   // 000000002EA8: 923CFF02 00000100
	s_cmp_eq_u32 s88, 0                                        // 000000002EB0: BF068058
	s_cselect_b32 s61, 1, 2                                    // 000000002EB4: 853D8281
	s_mul_i32 s60, s60, s61                                    // 000000002EB8: 923C3D3C
	s_mov_b32 s90, s8                                          // 000000002EBC: BEDA0008
	s_mov_b32 s91, s9                                          // 000000002EC0: BEDB0009
	s_add_u32 s8, s60, s8                                      // 000000002EC4: 8008083C
	s_addc_u32 s9, 0, s9                                       // 000000002EC8: 82090980
	v_lshrrev_b32_e32 v4, 4, v0                                // 000000002ECC: 20080084
	v_mul_lo_u32 v20, 34, v4                                   // 000000002ED0: D2850014 000208A2
	v_and_b32_e32 v4, 15, v0                                   // 000000002ED8: 2608008F
	v_mul_lo_u32 v5, 2, v4                                     // 000000002EDC: D2850005 00020882
	v_add_u32_e32 v20, v5, v20                                 // 000000002EE4: 68282905
	s_mul_i32 s60, s7, 0x88                                    // 000000002EE8: 923CFF07 00000088
	v_add_u32_e32 v20, s60, v20                                // 000000002EF0: 6828283C
	v_lshlrev_b32_e32 v20, 2, v20                              // 000000002EF4: 24282882
	v_and_b32_e32 v4, 31, v0                                   // 000000002EF8: 2608009F
	v_lshrrev_b32_e32 v4, 1, v4                                // 000000002EFC: 20080881
	v_mul_lo_u32 v21, 34, v4                                   // 000000002F00: D2850015 000208A2
	v_lshrrev_b32_e32 v4, 5, v0                                // 000000002F08: 20080085
	v_mul_lo_u32 v4, 8, v4                                     // 000000002F0C: D2850004 00020888
	v_add_u32_e32 v21, v21, v4                                 // 000000002F14: 682A0915
	v_and_b32_e32 v5, 1, v0                                    // 000000002F18: 260A0081
	v_add_u32_e32 v21, v5, v21                                 // 000000002F1C: 682A2B05
	s_mul_i32 s60, s7, 2                                       // 000000002F20: 923C8207
	v_add_u32_e32 v21, s60, v21                                // 000000002F24: 682A2A3C
	v_lshlrev_b32_e32 v21, 2, v21                              // 000000002F28: 242A2A82
	s_mul_i32 s60, s7, 0x1020                                  // 000000002F2C: 923CFF07 00001020
	s_add_u32 s48, 0, s60                                      // 000000002F34: 80303C80
	s_add_u32 s49, 0x4080, s48                                 // 000000002F38: 803130FF 00004080
	s_add_u32 s50, 0x4080, s49                                 // 000000002F40: 803231FF 00004080
	v_lshrrev_b32_e32 v4, 4, v0                                // 000000002F48: 20080084
	v_lshlrev_b32_e32 v5, 2, v4                                // 000000002F4C: 240A0882
	v_and_b32_e32 v4, 15, v0                                   // 000000002F50: 2608008F
	v_lshrrev_b32_e32 v6, 2, v4                                // 000000002F54: 200C0882
	v_lshlrev_b32_e32 v6, 5, v6                                // 000000002F58: 240C0C85
	v_add_u32_e32 v5, v6, v5                                   // 000000002F5C: 680A0B06
	v_and_b32_e32 v4, 3, v0                                    // 000000002F60: 26080083
	v_mul_u32_u24_e32 v6, 0x408, v4                            // 000000002F64: 100C08FF 00000408
	v_add_u32_e32 v5, v6, v5                                   // 000000002F6C: 680A0B06
	v_lshlrev_b32_e32 v2, 2, v5                                // 000000002F70: 24040A82
	s_waitcnt lgkmcnt(0)                                       // 000000002F74: BF8CC07F
	s_mul_i32 s60, s2, 0x80                                    // 000000002F78: 923CFF02 00000080
	s_mul_i32 s60, s60, s69                                    // 000000002F80: 923C453C
	s_mul_i32 s61, s5, s72                                     // 000000002F84: 923D4805
	s_add_u32 s60, s61, s60                                    // 000000002F88: 803C3C3D
	s_add_u32 s24, s60, s24                                    // 000000002F8C: 8018183C
	s_addc_u32 s25, 0, s25                                     // 000000002F90: 82191980
	s_lshr_b32 s60, s64, s88                                   // 000000002F94: 8F3C5840
	s_mul_i32 s60, s4, s60                                     // 000000002F98: 923C3C04
	s_lshr_b32 s60, s60, 7                                     // 000000002F9C: 8F3C873C
	s_mul_i32 s60, s60, 0x800                                  // 000000002FA0: 923CFF3C 00000800
	s_add_u32 s24, s60, s24                                    // 000000002FA8: 8018183C
	s_addc_u32 s25, 0, s25                                     // 000000002FAC: 82191980
	s_lshr_b32 s60, s69, s88                                   // 000000002FB0: 8F3C5845
	s_mul_i32 s60, s4, s60                                     // 000000002FB4: 923C3C04
	s_add_u32 s20, s60, s20                                    // 000000002FB8: 8014143C
	s_addc_u32 s21, 0, s21                                     // 000000002FBC: 82151580
	s_mul_i32 s60, s7, 16                                      // 000000002FC0: 923C9007
	s_mul_i32 s60, s60, s69                                    // 000000002FC4: 923C453C
	v_lshlrev_b32_e32 v78, 4, v0                               // 000000002FC8: 249C0084
	v_add_u32_e32 v78, s60, v78                                // 000000002FCC: 689C9C3C
	s_mul_i32 s60, 64, s69                                     // 000000002FD0: 923C45C0
	v_add_u32_e32 v79, s60, v78                                // 000000002FD4: 689E9C3C
	s_mov_b32 s84, s24                                         // 000000002FD8: BED40018
	s_mov_b32 s85, s25                                         // 000000002FDC: BED50019
	s_mov_b32 s86, s26                                         // 000000002FE0: BED6001A
	s_mov_b32 s87, s27                                         // 000000002FE4: BED7001B
	s_mul_i32 s60, s69, s65                                    // 000000002FE8: 923C4145
	s_add_u32 s84, s60, s84                                    // 000000002FEC: 8054543C
	s_addc_u32 s85, 0, s85                                     // 000000002FF0: 82555580
	v_lshrrev_b32_e32 v4, 4, v0                                // 000000002FF4: 20080084
	v_lshlrev_b32_e32 v5, 2, v4                                // 000000002FF8: 240A0882
	v_and_b32_e32 v4, 15, v0                                   // 000000002FFC: 2608008F
	v_lshrrev_b32_e32 v6, 2, v4                                // 000000003000: 200C0882
	v_lshlrev_b32_e32 v6, 6, v6                                // 000000003004: 240C0C86
	v_add_u32_e32 v5, v6, v5                                   // 000000003008: 680A0B06
	v_and_b32_e32 v4, 3, v0                                    // 00000000300C: 26080083
	v_add_u32_e32 v5, v4, v5                                   // 000000003010: 680A0B04
	v_lshlrev_b32_e32 v22, 2, v5                               // 000000003014: 242C0A82
	s_mul_i32 s60, s7, 16                                      // 000000003018: 923C9007
	s_mul_i32 s60, s60, 4                                      // 00000000301C: 923C843C
	v_add_u32_e32 v22, s60, v22                                // 000000003020: 682C2C3C
	s_mul_i32 s60, s2, 0x80                                    // 000000003024: 923CFF02 00000080
	s_mul_i32 s60, s60, 4                                      // 00000000302C: 923C843C
	s_mul_i32 s61, s5, s74                                     // 000000003030: 923D4A05
	s_add_u32 s61, s61, s60                                    // 000000003034: 803D3C3D
	s_add_u32 s32, s61, s32                                    // 000000003038: 8020203D
	s_addc_u32 s33, 0, s33                                     // 00000000303C: 82212180
	s_mov_b32 s57, 0x80                                        // 000000003040: BEB900FF 00000080
	s_mov_b32 s58, 0x800                                       // 000000003048: BEBA00FF 00000800
	s_mov_b32 s83, s58                                         // 000000003050: BED3003A
	s_mov_b32 s52, 0x7060302                                   // 000000003054: BEB400FF 07060302
	s_mov_b32 s53, 0x400                                       // 00000000305C: BEB500FF 00000400
	s_mov_b32 s54, 0x40100                                     // 000000003064: BEB600FF 00040100
	s_mov_b32 s55, 0x4020100                                   // 00000000306C: BEB700FF 04020100
	s_mov_b32 s6, 0x3fb8aa3b                                   // 000000003074: BE8600FF 3FB8AA3B
	s_mov_b32 s78, 0xbd92220c                                  // 00000000307C: BECE00FF BD92220C
	s_mov_b32 s79, 0xbd92220c                                  // 000000003084: BECF00FF BD92220C
	s_mov_b32 m0, s48                                          // 00000000308C: BEFC0030
	v_mov_b32_e32 v1, 0xbfcc4231                               // 000000003090: 7E0202FF BFCC4231
	v_mov_b32_e32 v17, 0xffff0000                              // 000000003098: 7E2202FF FFFF0000
	v_mov_b32_e32 v18, 0x7fff0000                              // 0000000030A0: 7E2402FF 7FFF0000
	v_mov_b32_e32 v19, 0x7fff                                  // 0000000030A8: 7E2602FF 00007FFF
	s_waitcnt vmcnt(0) expcnt(0) lgkmcnt(0)                    // 0000000030B0: BF8C0000
	v_lshrrev_b32_e32 v4, 5, v0                                // 0000000030B4: 20080085
	v_xor_b32_e32 v5, 1, v4                                    // 0000000030B8: 2A0A0881
	v_readlane_b32 s82, v3, 0                                  // 0000000030BC: D2890052 00010103
	s_and_b32 s82, s82, 0xffffff                               // 0000000030C4: 8652FF52 00FFFFFF
	v_mul_lo_u32 v6, v5, s82                                   // 0000000030CC: D2850006 0000A505
	v_readlane_b32 s82, v3, 1                                  // 0000000030D4: D2890052 00010303
	s_and_b32 s82, s82, 0xffffff                               // 0000000030DC: 8652FF52 00FFFFFF
	v_mul_lo_u32 v7, v4, s82                                   // 0000000030E4: D2850007 0000A504
	v_add_u32_e32 v62, v6, v7                                  // 0000000030EC: 687C0F06
	v_mul_lo_u32 v62, v62, s68                                 // 0000000030F0: D285003E 0000893E
	v_readlane_b32 s82, v3, 2                                  // 0000000030F8: D2890052 00010503
	s_and_b32 s82, s82, 0xffffff                               // 000000003100: 8652FF52 00FFFFFF
	v_mul_lo_u32 v6, v5, s82                                   // 000000003108: D2850006 0000A505
	v_readlane_b32 s82, v3, 3                                  // 000000003110: D2890052 00010703
	s_and_b32 s82, s82, 0xffffff                               // 000000003118: 8652FF52 00FFFFFF
	v_mul_lo_u32 v7, v4, s82                                   // 000000003120: D2850007 0000A504
	v_add_u32_e32 v63, v6, v7                                  // 000000003128: 687E0F06
	v_mul_lo_u32 v63, v63, s68                                 // 00000000312C: D285003F 0000893F
	v_readlane_b32 s82, v3, 4                                  // 000000003134: D2890052 00010903
	s_and_b32 s82, s82, 0xffffff                               // 00000000313C: 8652FF52 00FFFFFF
	v_mul_lo_u32 v6, v5, s82                                   // 000000003144: D2850006 0000A505
	v_readlane_b32 s82, v3, 5                                  // 00000000314C: D2890052 00010B03
	s_and_b32 s82, s82, 0xffffff                               // 000000003154: 8652FF52 00FFFFFF
	v_mul_lo_u32 v7, v4, s82                                   // 00000000315C: D2850007 0000A504
	v_add_u32_e32 v64, v6, v7                                  // 000000003164: 68800F06
	v_mul_lo_u32 v64, v64, s68                                 // 000000003168: D2850040 00008940
	v_readlane_b32 s82, v3, 6                                  // 000000003170: D2890052 00010D03
	s_and_b32 s82, s82, 0xffffff                               // 000000003178: 8652FF52 00FFFFFF
	v_mul_lo_u32 v6, v5, s82                                   // 000000003180: D2850006 0000A505
	v_readlane_b32 s82, v3, 7                                  // 000000003188: D2890052 00010F03
	s_and_b32 s82, s82, 0xffffff                               // 000000003190: 8652FF52 00FFFFFF
	v_mul_lo_u32 v7, v4, s82                                   // 000000003198: D2850007 0000A504
	v_add_u32_e32 v65, v6, v7                                  // 0000000031A0: 68820F06
	v_mul_lo_u32 v65, v65, s68                                 // 0000000031A4: D2850041 00008941
	v_readlane_b32 s82, v3, 8                                  // 0000000031AC: D2890052 00011103
	s_and_b32 s82, s82, 0xffffff                               // 0000000031B4: 8652FF52 00FFFFFF
	v_mul_lo_u32 v6, v5, s82                                   // 0000000031BC: D2850006 0000A505
	v_readlane_b32 s82, v3, 9                                  // 0000000031C4: D2890052 00011303
	s_and_b32 s82, s82, 0xffffff                               // 0000000031CC: 8652FF52 00FFFFFF
	v_mul_lo_u32 v7, v4, s82                                   // 0000000031D4: D2850007 0000A504
	v_add_u32_e32 v66, v6, v7                                  // 0000000031DC: 68840F06
	v_mul_lo_u32 v66, v66, s68                                 // 0000000031E0: D2850042 00008942
	v_readlane_b32 s82, v3, 10                                 // 0000000031E8: D2890052 00011503
	s_and_b32 s82, s82, 0xffffff                               // 0000000031F0: 8652FF52 00FFFFFF
	v_mul_lo_u32 v6, v5, s82                                   // 0000000031F8: D2850006 0000A505
	v_readlane_b32 s82, v3, 11                                 // 000000003200: D2890052 00011703
	s_and_b32 s82, s82, 0xffffff                               // 000000003208: 8652FF52 00FFFFFF
	v_mul_lo_u32 v7, v4, s82                                   // 000000003210: D2850007 0000A504
	v_add_u32_e32 v67, v6, v7                                  // 000000003218: 68860F06
	v_mul_lo_u32 v67, v67, s68                                 // 00000000321C: D2850043 00008943
	v_readlane_b32 s82, v3, 12                                 // 000000003224: D2890052 00011903
	s_and_b32 s82, s82, 0xffffff                               // 00000000322C: 8652FF52 00FFFFFF
	v_mul_lo_u32 v6, v5, s82                                   // 000000003234: D2850006 0000A505
	v_readlane_b32 s82, v3, 13                                 // 00000000323C: D2890052 00011B03
	s_and_b32 s82, s82, 0xffffff                               // 000000003244: 8652FF52 00FFFFFF
	v_mul_lo_u32 v7, v4, s82                                   // 00000000324C: D2850007 0000A504
	v_add_u32_e32 v68, v6, v7                                  // 000000003254: 68880F06
	v_mul_lo_u32 v68, v68, s68                                 // 000000003258: D2850044 00008944
	v_readlane_b32 s82, v3, 14                                 // 000000003260: D2890052 00011D03
	s_and_b32 s82, s82, 0xffffff                               // 000000003268: 8652FF52 00FFFFFF
	v_mul_lo_u32 v6, v5, s82                                   // 000000003270: D2850006 0000A505
	v_readlane_b32 s82, v3, 15                                 // 000000003278: D2890052 00011F03
	s_and_b32 s82, s82, 0xffffff                               // 000000003280: 8652FF52 00FFFFFF
	v_mul_lo_u32 v7, v4, s82                                   // 000000003288: D2850007 0000A504
	v_add_u32_e32 v69, v6, v7                                  // 000000003290: 688A0F06
	v_mul_lo_u32 v69, v69, s68                                 // 000000003294: D2850045 00008945
	v_readlane_b32 s82, v3, 16                                 // 00000000329C: D2890052 00012103
	s_and_b32 s82, s82, 0xffffff                               // 0000000032A4: 8652FF52 00FFFFFF
	v_mul_lo_u32 v6, v5, s82                                   // 0000000032AC: D2850006 0000A505
	v_readlane_b32 s82, v3, 17                                 // 0000000032B4: D2890052 00012303
	s_and_b32 s82, s82, 0xffffff                               // 0000000032BC: 8652FF52 00FFFFFF
	v_mul_lo_u32 v7, v4, s82                                   // 0000000032C4: D2850007 0000A504
	v_add_u32_e32 v70, v6, v7                                  // 0000000032CC: 688C0F06
	v_mul_lo_u32 v70, v70, s68                                 // 0000000032D0: D2850046 00008946
	v_readlane_b32 s82, v3, 18                                 // 0000000032D8: D2890052 00012503
	s_and_b32 s82, s82, 0xffffff                               // 0000000032E0: 8652FF52 00FFFFFF
	v_mul_lo_u32 v6, v5, s82                                   // 0000000032E8: D2850006 0000A505
	v_readlane_b32 s82, v3, 19                                 // 0000000032F0: D2890052 00012703
	s_and_b32 s82, s82, 0xffffff                               // 0000000032F8: 8652FF52 00FFFFFF
	v_mul_lo_u32 v7, v4, s82                                   // 000000003300: D2850007 0000A504
	v_add_u32_e32 v71, v6, v7                                  // 000000003308: 688E0F06
	v_mul_lo_u32 v71, v71, s68                                 // 00000000330C: D2850047 00008947
	v_readlane_b32 s82, v3, 20                                 // 000000003314: D2890052 00012903
	s_and_b32 s82, s82, 0xffffff                               // 00000000331C: 8652FF52 00FFFFFF
	v_mul_lo_u32 v6, v5, s82                                   // 000000003324: D2850006 0000A505
	v_readlane_b32 s82, v3, 21                                 // 00000000332C: D2890052 00012B03
	s_and_b32 s82, s82, 0xffffff                               // 000000003334: 8652FF52 00FFFFFF
	v_mul_lo_u32 v7, v4, s82                                   // 00000000333C: D2850007 0000A504
	v_add_u32_e32 v72, v6, v7                                  // 000000003344: 68900F06
	v_mul_lo_u32 v72, v72, s68                                 // 000000003348: D2850048 00008948
	v_readlane_b32 s82, v3, 22                                 // 000000003350: D2890052 00012D03
	s_and_b32 s82, s82, 0xffffff                               // 000000003358: 8652FF52 00FFFFFF
	v_mul_lo_u32 v6, v5, s82                                   // 000000003360: D2850006 0000A505
	v_readlane_b32 s82, v3, 23                                 // 000000003368: D2890052 00012F03
	s_and_b32 s82, s82, 0xffffff                               // 000000003370: 8652FF52 00FFFFFF
	v_mul_lo_u32 v7, v4, s82                                   // 000000003378: D2850007 0000A504
	v_add_u32_e32 v73, v6, v7                                  // 000000003380: 68920F06
	v_mul_lo_u32 v73, v73, s68                                 // 000000003384: D2850049 00008949
	v_readlane_b32 s82, v3, 24                                 // 00000000338C: D2890052 00013103
	s_and_b32 s82, s82, 0xffffff                               // 000000003394: 8652FF52 00FFFFFF
	v_mul_lo_u32 v6, v5, s82                                   // 00000000339C: D2850006 0000A505
	v_readlane_b32 s82, v3, 25                                 // 0000000033A4: D2890052 00013303
	s_and_b32 s82, s82, 0xffffff                               // 0000000033AC: 8652FF52 00FFFFFF
	v_mul_lo_u32 v7, v4, s82                                   // 0000000033B4: D2850007 0000A504
	v_add_u32_e32 v74, v6, v7                                  // 0000000033BC: 68940F06
	v_mul_lo_u32 v74, v74, s68                                 // 0000000033C0: D285004A 0000894A
	v_readlane_b32 s82, v3, 26                                 // 0000000033C8: D2890052 00013503
	s_and_b32 s82, s82, 0xffffff                               // 0000000033D0: 8652FF52 00FFFFFF
	v_mul_lo_u32 v6, v5, s82                                   // 0000000033D8: D2850006 0000A505
	v_readlane_b32 s82, v3, 27                                 // 0000000033E0: D2890052 00013703
	s_and_b32 s82, s82, 0xffffff                               // 0000000033E8: 8652FF52 00FFFFFF
	v_mul_lo_u32 v7, v4, s82                                   // 0000000033F0: D2850007 0000A504
	v_add_u32_e32 v75, v6, v7                                  // 0000000033F8: 68960F06
	v_mul_lo_u32 v75, v75, s68                                 // 0000000033FC: D285004B 0000894B
	v_readlane_b32 s82, v3, 28                                 // 000000003404: D2890052 00013903
	s_and_b32 s82, s82, 0xffffff                               // 00000000340C: 8652FF52 00FFFFFF
	v_mul_lo_u32 v6, v5, s82                                   // 000000003414: D2850006 0000A505
	v_readlane_b32 s82, v3, 29                                 // 00000000341C: D2890052 00013B03
	s_and_b32 s82, s82, 0xffffff                               // 000000003424: 8652FF52 00FFFFFF
	v_mul_lo_u32 v7, v4, s82                                   // 00000000342C: D2850007 0000A504
	v_add_u32_e32 v76, v6, v7                                  // 000000003434: 68980F06
	v_mul_lo_u32 v76, v76, s68                                 // 000000003438: D285004C 0000894C
	v_readlane_b32 s82, v3, 30                                 // 000000003440: D2890052 00013D03
	s_and_b32 s82, s82, 0xffffff                               // 000000003448: 8652FF52 00FFFFFF
	v_mul_lo_u32 v6, v5, s82                                   // 000000003450: D2850006 0000A505
	v_readlane_b32 s82, v3, 31                                 // 000000003458: D2890052 00013F03
	s_and_b32 s82, s82, 0xffffff                               // 000000003460: 8652FF52 00FFFFFF
	v_mul_lo_u32 v7, v4, s82                                   // 000000003468: D2850007 0000A504
	v_add_u32_e32 v77, v6, v7                                  // 000000003470: 689A0F06
	v_mul_lo_u32 v77, v77, s68                                 // 000000003474: D285004D 0000894D
	v_and_b32_e32 v4, 31, v0                                   // 00000000347C: 2608009F
	v_lshlrev_b32_e32 v4, 2, v4                                // 000000003480: 24080882
	v_add_u32_e32 v62, v62, v4                                 // 000000003484: 687C093E
	v_add_u32_e32 v63, v63, v4                                 // 000000003488: 687E093F
	v_add_u32_e32 v64, v64, v4                                 // 00000000348C: 68800940
	v_add_u32_e32 v65, v65, v4                                 // 000000003490: 68820941
	v_add_u32_e32 v66, v66, v4                                 // 000000003494: 68840942
	;; [unrolled: 1-line block ×3, first 2 shown]
	v_add_u32_e32 v68, v68, v4                                 // 00000000349C: 68880944
	v_add_u32_e32 v69, v69, v4                                 // 0000000034A0: 688A0945
	v_add_u32_e32 v70, v70, v4                                 // 0000000034A4: 688C0946
	v_add_u32_e32 v71, v71, v4                                 // 0000000034A8: 688E0947
	v_add_u32_e32 v72, v72, v4                                 // 0000000034AC: 68900948
	v_add_u32_e32 v73, v73, v4                                 // 0000000034B0: 68920949
	v_add_u32_e32 v74, v74, v4                                 // 0000000034B4: 6894094A
	v_add_u32_e32 v75, v75, v4                                 // 0000000034B8: 6896094B
	v_add_u32_e32 v76, v76, v4                                 // 0000000034BC: 6898094C
	v_add_u32_e32 v77, v77, v4                                 // 0000000034C0: 689A094D
	v_and_b32_e32 v30, 0xffffff, v30                           // 0000000034C4: 263C3CFF 00FFFFFF
	v_lshlrev_b32_e32 v30, 2, v30                              // 0000000034CC: 243C3C82
	v_and_b32_e32 v31, 0xffffff, v31                           // 0000000034D0: 263E3EFF 00FFFFFF
	v_lshlrev_b32_e32 v31, 2, v31                              // 0000000034D8: 243E3E82
	v_and_b32_e32 v32, 0xffffff, v32                           // 0000000034DC: 264040FF 00FFFFFF
	v_lshlrev_b32_e32 v32, 2, v32                              // 0000000034E4: 24404082
	v_and_b32_e32 v33, 0xffffff, v33                           // 0000000034E8: 264242FF 00FFFFFF
	v_lshlrev_b32_e32 v33, 2, v33                              // 0000000034F0: 24424282
	v_and_b32_e32 v34, 0xffffff, v34                           // 0000000034F4: 264444FF 00FFFFFF
	v_lshlrev_b32_e32 v34, 2, v34                              // 0000000034FC: 24444482
	v_and_b32_e32 v35, 0xffffff, v35                           // 000000003500: 264646FF 00FFFFFF
	v_lshlrev_b32_e32 v35, 2, v35                              // 000000003508: 24464682
	v_and_b32_e32 v36, 0xffffff, v36                           // 00000000350C: 264848FF 00FFFFFF
	v_lshlrev_b32_e32 v36, 2, v36                              // 000000003514: 24484882
	v_and_b32_e32 v37, 0xffffff, v37                           // 000000003518: 264A4AFF 00FFFFFF
	v_lshlrev_b32_e32 v37, 2, v37                              // 000000003520: 244A4A82
	s_lshl_b32 s3, s66, 2                                      // 000000003524: 8E038242
	buffer_load_dword v38, v30, s[28:31], 0 offen              // 000000003528: E0501000 8007261E
	buffer_load_dword v39, v31, s[28:31], 0 offen              // 000000003530: E0501000 8007271F
	buffer_load_dword v40, v32, s[28:31], 0 offen              // 000000003538: E0501000 80072820
	buffer_load_dword v41, v33, s[28:31], 0 offen              // 000000003540: E0501000 80072921
	buffer_load_dword v42, v34, s[28:31], 0 offen              // 000000003548: E0501000 80072A22
	buffer_load_dword v43, v35, s[28:31], 0 offen              // 000000003550: E0501000 80072B23
	buffer_load_dword v44, v36, s[28:31], 0 offen              // 000000003558: E0501000 80072C24
	buffer_load_dword v45, v37, s[28:31], 0 offen              // 000000003560: E0501000 80072D25
	buffer_load_dword v24, v22, s[32:35], 0 offen              // 000000003568: E0501000 80081816
	s_mul_i32 s60, 4, s65                                      // 000000003570: 923C4184
	s_add_u32 s32, s60, s32                                    // 000000003574: 8020203C
	s_addc_u32 s33, 0, s33                                     // 000000003578: 82212180
	buffer_load_dword v27, v22, s[32:35], 0 offen              // 00000000357C: E0501000 80081B16
	buffer_load_dword v62, s[20:23], 0 offen lds               // 000000003584: E0511000 8005003E
	s_add_u32 m0, 0x100, s48                                   // 00000000358C: 807C30FF 00000100
	buffer_load_dword v63, s[20:23], 0 offen lds               // 000000003594: E0511000 8005003F
	s_add_u32 m0, 0x200, s48                                   // 00000000359C: 807C30FF 00000200
	buffer_load_dword v64, s[20:23], 0 offen lds               // 0000000035A4: E0511000 80050040
	s_add_u32 m0, 0x300, s48                                   // 0000000035AC: 807C30FF 00000300
	buffer_load_dword v65, s[20:23], 0 offen lds               // 0000000035B4: E0511000 80050041
	s_add_u32 m0, 0x400, s48                                   // 0000000035BC: 807C30FF 00000400
	buffer_load_dword v66, s[20:23], 0 offen lds               // 0000000035C4: E0511000 80050042
	s_add_u32 m0, 0x500, s48                                   // 0000000035CC: 807C30FF 00000500
	buffer_load_dword v67, s[20:23], 0 offen lds               // 0000000035D4: E0511000 80050043
	s_add_u32 m0, 0x600, s48                                   // 0000000035DC: 807C30FF 00000600
	buffer_load_dword v68, s[20:23], 0 offen lds               // 0000000035E4: E0511000 80050044
	s_add_u32 m0, 0x700, s48                                   // 0000000035EC: 807C30FF 00000700
	buffer_load_dword v69, s[20:23], 0 offen lds               // 0000000035F4: E0511000 80050045
	s_add_u32 m0, 0x800, s48                                   // 0000000035FC: 807C30FF 00000800
	buffer_load_dword v70, s[20:23], 0 offen lds               // 000000003604: E0511000 80050046
	s_add_u32 m0, 0x900, s48                                   // 00000000360C: 807C30FF 00000900
	buffer_load_dword v71, s[20:23], 0 offen lds               // 000000003614: E0511000 80050047
	s_add_u32 m0, 0xa00, s48                                   // 00000000361C: 807C30FF 00000A00
	buffer_load_dword v72, s[20:23], 0 offen lds               // 000000003624: E0511000 80050048
	s_add_u32 m0, 0xb00, s48                                   // 00000000362C: 807C30FF 00000B00
	buffer_load_dword v73, s[20:23], 0 offen lds               // 000000003634: E0511000 80050049
	s_add_u32 m0, 0xc00, s48                                   // 00000000363C: 807C30FF 00000C00
	buffer_load_dword v74, s[20:23], 0 offen lds               // 000000003644: E0511000 8005004A
	s_add_u32 m0, 0xd00, s48                                   // 00000000364C: 807C30FF 00000D00
	buffer_load_dword v75, s[20:23], 0 offen lds               // 000000003654: E0511000 8005004B
	s_add_u32 m0, 0xe00, s48                                   // 00000000365C: 807C30FF 00000E00
	buffer_load_dword v76, s[20:23], 0 offen lds               // 000000003664: E0511000 8005004C
	s_add_u32 m0, 0xf00, s48                                   // 00000000366C: 807C30FF 00000F00
	buffer_load_dword v77, s[20:23], 0 offen lds               // 000000003674: E0511000 8005004D
	s_add_u32 m0, 0, s49                                       // 00000000367C: 807C3180
	s_add_u32 s20, s57, s20                                    // 000000003680: 80141439
	s_addc_u32 s21, 0, s21                                     // 000000003684: 82151580
	buffer_load_dwordx4 a[128:131], v78, s[24:27], 0 offen     // 000000003688: E05C1000 8086804E
	buffer_load_dwordx4 a[132:135], v78, s[24:27], 0 offen offset:1024// 000000003690: E05C1400 8086844E
	buffer_load_dwordx4 a[136:139], v79, s[24:27], 0 offen     // 000000003698: E05C1000 8086884F
	buffer_load_dwordx4 a[140:143], v79, s[24:27], 0 offen offset:1024// 0000000036A0: E05C1400 80868C4F
	s_add_u32 s24, s58, s24                                    // 0000000036A8: 8018183A
	s_addc_u32 s25, 0, s25                                     // 0000000036AC: 82191980
	buffer_load_dword v62, s[20:23], 0 offen lds               // 0000000036B0: E0511000 8005003E
	s_add_u32 m0, 0x100, s49                                   // 0000000036B8: 807C31FF 00000100
	buffer_load_dword v63, s[20:23], 0 offen lds               // 0000000036C0: E0511000 8005003F
	s_add_u32 m0, 0x200, s49                                   // 0000000036C8: 807C31FF 00000200
	buffer_load_dword v64, s[20:23], 0 offen lds               // 0000000036D0: E0511000 80050040
	s_add_u32 m0, 0x300, s49                                   // 0000000036D8: 807C31FF 00000300
	buffer_load_dword v65, s[20:23], 0 offen lds               // 0000000036E0: E0511000 80050041
	s_add_u32 m0, 0x400, s49                                   // 0000000036E8: 807C31FF 00000400
	buffer_load_dword v66, s[20:23], 0 offen lds               // 0000000036F0: E0511000 80050042
	s_add_u32 m0, 0x500, s49                                   // 0000000036F8: 807C31FF 00000500
	buffer_load_dword v67, s[20:23], 0 offen lds               // 000000003700: E0511000 80050043
	s_add_u32 m0, 0x600, s49                                   // 000000003708: 807C31FF 00000600
	buffer_load_dword v68, s[20:23], 0 offen lds               // 000000003710: E0511000 80050044
	s_add_u32 m0, 0x700, s49                                   // 000000003718: 807C31FF 00000700
	;; [unrolled: 2-line block ×4, first 2 shown]
	buffer_load_dword v71, s[20:23], 0 offen lds               // 000000003740: E0511000 80050047
	s_add_u32 m0, 0xa00, s49                                   // 000000003748: 807C31FF 00000A00
	buffer_load_dword v72, s[20:23], 0 offen lds               // 000000003750: E0511000 80050048
	s_add_u32 m0, 0xb00, s49                                   // 000000003758: 807C31FF 00000B00
	buffer_load_dword v73, s[20:23], 0 offen lds               // 000000003760: E0511000 80050049
	s_add_u32 m0, 0xc00, s49                                   // 000000003768: 807C31FF 00000C00
	buffer_load_dword v74, s[20:23], 0 offen lds               // 000000003770: E0511000 8005004A
	s_add_u32 m0, 0xd00, s49                                   // 000000003778: 807C31FF 00000D00
	buffer_load_dword v75, s[20:23], 0 offen lds               // 000000003780: E0511000 8005004B
	s_add_u32 m0, 0xe00, s49                                   // 000000003788: 807C31FF 00000E00
	buffer_load_dword v76, s[20:23], 0 offen lds               // 000000003790: E0511000 8005004C
	s_add_u32 m0, 0xf00, s49                                   // 000000003798: 807C31FF 00000F00
	buffer_load_dword v77, s[20:23], 0 offen lds               // 0000000037A0: E0511000 8005004D
	s_add_u32 m0, 0, s50                                       // 0000000037A8: 807C3280
	s_add_u32 s20, s57, s20                                    // 0000000037AC: 80141439
	s_addc_u32 s21, 0, s21                                     // 0000000037B0: 82151580
	buffer_load_dwordx4 a[144:147], v78, s[84:87], 0 offen     // 0000000037B4: E05C1000 8095904E
	buffer_load_dwordx4 a[148:151], v78, s[84:87], 0 offen offset:1024// 0000000037BC: E05C1400 8095944E
	buffer_load_dwordx4 a[152:155], v79, s[84:87], 0 offen     // 0000000037C4: E05C1000 8095984F
	buffer_load_dwordx4 a[156:159], v79, s[84:87], 0 offen offset:1024// 0000000037CC: E05C1400 80959C4F
	s_add_u32 s84, s83, s84                                    // 0000000037D4: 80545453
	s_addc_u32 s85, 0, s85                                     // 0000000037D8: 82555580
	s_waitcnt vmcnt(24)                                        // 0000000037DC: BF8C4F78
	s_barrier                                                  // 0000000037E0: BF8A0000
	ds_read_b128 a[0:3], v2                                    // 0000000037E4: DBFE0000 00000002
	ds_read_b128 a[4:7], v2 offset:64                          // 0000000037EC: DBFE0040 04000002
	ds_read_b128 a[8:11], v2 offset:512                        // 0000000037F4: DBFE0200 08000002
	ds_read_b128 a[12:15], v2 offset:576                       // 0000000037FC: DBFE0240 0C000002
	ds_read_b128 a[16:19], v2 offset:1024                      // 000000003804: DBFE0400 10000002
	ds_read_b128 a[20:23], v2 offset:1088                      // 00000000380C: DBFE0440 14000002
	ds_read_b128 a[24:27], v2 offset:1536                      // 000000003814: DBFE0600 18000002
	ds_read_b128 a[28:31], v2 offset:1600                      // 00000000381C: DBFE0640 1C000002
	ds_read_b128 a[32:35], v2 offset:2048                      // 000000003824: DBFE0800 20000002
	ds_read_b128 a[36:39], v2 offset:2112                      // 00000000382C: DBFE0840 24000002
	ds_read_b128 a[40:43], v2 offset:2560                      // 000000003834: DBFE0A00 28000002
	ds_read_b128 a[44:47], v2 offset:2624                      // 00000000383C: DBFE0A40 2C000002
	ds_read_b128 a[48:51], v2 offset:3072                      // 000000003844: DBFE0C00 30000002
	ds_read_b128 a[52:55], v2 offset:3136                      // 00000000384C: DBFE0C40 34000002
	ds_read_b128 a[56:59], v2 offset:3584                      // 000000003854: DBFE0E00 38000002
	ds_read_b128 a[60:63], v2 offset:3648                      // 00000000385C: DBFE0E40 3C000002
	s_cmp_lt_i32 s7, 2                                         // 000000003864: BF048207
	s_cbranch_scc0 label_2046                                  // 000000003868: BF841CA8

000000000000386c <label_039B>:
	s_waitcnt vmcnt(20) lgkmcnt(0)                             // 00000000386C: BF8C4074
	v_mfma_i32_16x16x32_i8 v[80:83], a[128:129], a[0:1], v[80:83]// 000000003870: D3D70050 1D420180
	v_mfma_i32_16x16x32_i8 v[80:83], a[130:131], a[2:3], v[80:83]// 000000003878: D3D70050 1D420582
	buffer_load_dwordx4 a[160:163], v78, s[24:27], 0 offen     // 000000003880: E05C1000 8086A04E
	v_mfma_i32_16x16x32_i8 v[80:83], a[132:133], a[4:5], v[80:83]// 000000003888: D3D70050 1D420984
	v_mfma_i32_16x16x32_i8 v[80:83], a[134:135], a[6:7], v[80:83]// 000000003890: D3D70050 1D420D86
	v_mfma_i32_16x16x32_i8 v[112:115], a[136:137], a[0:1], v[112:115]// 000000003898: D3D70070 1DC20188
	v_mfma_i32_16x16x32_i8 v[112:115], a[138:139], a[2:3], v[112:115]// 0000000038A0: D3D70070 1DC2058A
	buffer_load_dwordx4 a[164:167], v78, s[24:27], 0 offen offset:1024// 0000000038A8: E05C1400 8086A44E
	v_mfma_i32_16x16x32_i8 v[112:115], a[140:141], a[4:5], v[112:115]// 0000000038B0: D3D70070 1DC2098C
	v_mfma_i32_16x16x32_i8 v[112:115], a[142:143], a[6:7], v[112:115]// 0000000038B8: D3D70070 1DC20D8E
	v_mfma_i32_16x16x32_i8 v[84:87], a[128:129], a[8:9], v[84:87]// 0000000038C0: D3D70054 1D521180
	v_mfma_i32_16x16x32_i8 v[84:87], a[130:131], a[10:11], v[84:87]// 0000000038C8: D3D70054 1D521582
	buffer_load_dwordx4 a[168:171], v79, s[24:27], 0 offen     // 0000000038D0: E05C1000 8086A84F
	v_mfma_i32_16x16x32_i8 v[84:87], a[132:133], a[12:13], v[84:87]// 0000000038D8: D3D70054 1D521984
	v_mfma_i32_16x16x32_i8 v[84:87], a[134:135], a[14:15], v[84:87]// 0000000038E0: D3D70054 1D521D86
	v_mfma_i32_16x16x32_i8 v[116:119], a[136:137], a[8:9], v[116:119]// 0000000038E8: D3D70074 1DD21188
	v_mfma_i32_16x16x32_i8 v[116:119], a[138:139], a[10:11], v[116:119]// 0000000038F0: D3D70074 1DD2158A
	buffer_load_dwordx4 a[172:175], v79, s[24:27], 0 offen offset:1024// 0000000038F8: E05C1400 8086AC4F
	buffer_load_dword v62, s[20:23], 0 offen lds               // 000000003900: E0511000 8005003E
	s_add_u32 m0, 0x100, s50                                   // 000000003908: 807C32FF 00000100
	v_mfma_i32_16x16x32_i8 v[116:119], a[140:141], a[12:13], v[116:119]// 000000003910: D3D70074 1DD2198C
	v_mfma_i32_16x16x32_i8 v[116:119], a[142:143], a[14:15], v[116:119]// 000000003918: D3D70074 1DD21D8E
	buffer_load_dword v63, s[20:23], 0 offen lds               // 000000003920: E0511000 8005003F
	s_add_u32 m0, 0x200, s50                                   // 000000003928: 807C32FF 00000200
	v_mfma_i32_16x16x32_i8 v[88:91], a[128:129], a[16:17], v[88:91]// 000000003930: D3D70058 1D622180
	v_mfma_i32_16x16x32_i8 v[88:91], a[130:131], a[18:19], v[88:91]// 000000003938: D3D70058 1D622582
	buffer_load_dword v64, s[20:23], 0 offen lds               // 000000003940: E0511000 80050040
	s_add_u32 m0, 0x300, s50                                   // 000000003948: 807C32FF 00000300
	v_mfma_i32_16x16x32_i8 v[88:91], a[132:133], a[20:21], v[88:91]// 000000003950: D3D70058 1D622984
	v_mfma_i32_16x16x32_i8 v[88:91], a[134:135], a[22:23], v[88:91]// 000000003958: D3D70058 1D622D86
	buffer_load_dword v65, s[20:23], 0 offen lds               // 000000003960: E0511000 80050041
	s_add_u32 m0, 0x400, s50                                   // 000000003968: 807C32FF 00000400
	v_mfma_i32_16x16x32_i8 v[120:123], a[136:137], a[16:17], v[120:123]// 000000003970: D3D70078 1DE22188
	v_mfma_i32_16x16x32_i8 v[120:123], a[138:139], a[18:19], v[120:123]// 000000003978: D3D70078 1DE2258A
	buffer_load_dword v66, s[20:23], 0 offen lds               // 000000003980: E0511000 80050042
	s_add_u32 m0, 0x500, s50                                   // 000000003988: 807C32FF 00000500
	v_mfma_i32_16x16x32_i8 v[120:123], a[140:141], a[20:21], v[120:123]// 000000003990: D3D70078 1DE2298C
	v_mfma_i32_16x16x32_i8 v[120:123], a[142:143], a[22:23], v[120:123]// 000000003998: D3D70078 1DE22D8E
	buffer_load_dword v67, s[20:23], 0 offen lds               // 0000000039A0: E0511000 80050043
	s_add_u32 m0, 0x600, s50                                   // 0000000039A8: 807C32FF 00000600
	v_mfma_i32_16x16x32_i8 v[92:95], a[128:129], a[24:25], v[92:95]// 0000000039B0: D3D7005C 1D723180
	v_mfma_i32_16x16x32_i8 v[92:95], a[130:131], a[26:27], v[92:95]// 0000000039B8: D3D7005C 1D723582
	buffer_load_dword v68, s[20:23], 0 offen lds               // 0000000039C0: E0511000 80050044
	s_add_u32 m0, 0x700, s50                                   // 0000000039C8: 807C32FF 00000700
	v_mfma_i32_16x16x32_i8 v[92:95], a[132:133], a[28:29], v[92:95]// 0000000039D0: D3D7005C 1D723984
	v_mfma_i32_16x16x32_i8 v[92:95], a[134:135], a[30:31], v[92:95]// 0000000039D8: D3D7005C 1D723D86
	buffer_load_dword v69, s[20:23], 0 offen lds               // 0000000039E0: E0511000 80050045
	s_add_u32 m0, 0x800, s50                                   // 0000000039E8: 807C32FF 00000800
	v_mfma_i32_16x16x32_i8 v[124:127], a[136:137], a[24:25], v[124:127]// 0000000039F0: D3D7007C 1DF23188
	v_mfma_i32_16x16x32_i8 v[124:127], a[138:139], a[26:27], v[124:127]// 0000000039F8: D3D7007C 1DF2358A
	buffer_load_dword v70, s[20:23], 0 offen lds               // 000000003A00: E0511000 80050046
	s_add_u32 m0, 0x900, s50                                   // 000000003A08: 807C32FF 00000900
	v_mfma_i32_16x16x32_i8 v[124:127], a[140:141], a[28:29], v[124:127]// 000000003A10: D3D7007C 1DF2398C
	v_mfma_i32_16x16x32_i8 v[124:127], a[142:143], a[30:31], v[124:127]// 000000003A18: D3D7007C 1DF23D8E
	buffer_load_dword v71, s[20:23], 0 offen lds               // 000000003A20: E0511000 80050047
	s_add_u32 m0, 0xa00, s50                                   // 000000003A28: 807C32FF 00000A00
	v_mfma_i32_16x16x32_i8 v[96:99], a[128:129], a[32:33], v[96:99]// 000000003A30: D3D70060 1D824180
	v_mfma_i32_16x16x32_i8 v[96:99], a[130:131], a[34:35], v[96:99]// 000000003A38: D3D70060 1D824582
	v_mfma_i32_16x16x32_i8 v[96:99], a[132:133], a[36:37], v[96:99]// 000000003A40: D3D70060 1D824984
	v_mfma_i32_16x16x32_i8 v[96:99], a[134:135], a[38:39], v[96:99]// 000000003A48: D3D70060 1D824D86
	v_mfma_i32_16x16x32_i8 v[128:131], a[136:137], a[32:33], v[128:131]// 000000003A50: D3D70080 1E024188
	v_mfma_i32_16x16x32_i8 v[128:131], a[138:139], a[34:35], v[128:131]// 000000003A58: D3D70080 1E02458A
	v_mfma_i32_16x16x32_i8 v[128:131], a[140:141], a[36:37], v[128:131]// 000000003A60: D3D70080 1E02498C
	v_mfma_i32_16x16x32_i8 v[128:131], a[142:143], a[38:39], v[128:131]// 000000003A68: D3D70080 1E024D8E
	v_mfma_i32_16x16x32_i8 v[100:103], a[128:129], a[40:41], v[100:103]// 000000003A70: D3D70064 1D925180
	v_mfma_i32_16x16x32_i8 v[100:103], a[130:131], a[42:43], v[100:103]// 000000003A78: D3D70064 1D925582
	buffer_load_dword v72, s[20:23], 0 offen lds               // 000000003A80: E0511000 80050048
	s_add_u32 m0, 0xb00, s50                                   // 000000003A88: 807C32FF 00000B00
	v_mfma_i32_16x16x32_i8 v[100:103], a[132:133], a[44:45], v[100:103]// 000000003A90: D3D70064 1D925984
	v_mfma_i32_16x16x32_i8 v[100:103], a[134:135], a[46:47], v[100:103]// 000000003A98: D3D70064 1D925D86
	buffer_load_dword v73, s[20:23], 0 offen lds               // 000000003AA0: E0511000 80050049
	s_add_u32 m0, 0xc00, s50                                   // 000000003AA8: 807C32FF 00000C00
	v_mfma_i32_16x16x32_i8 v[132:135], a[136:137], a[40:41], v[132:135]// 000000003AB0: D3D70084 1E125188
	v_mfma_i32_16x16x32_i8 v[132:135], a[138:139], a[42:43], v[132:135]// 000000003AB8: D3D70084 1E12558A
	buffer_load_dword v74, s[20:23], 0 offen lds               // 000000003AC0: E0511000 8005004A
	s_add_u32 m0, 0xd00, s50                                   // 000000003AC8: 807C32FF 00000D00
	v_mfma_i32_16x16x32_i8 v[132:135], a[140:141], a[44:45], v[132:135]// 000000003AD0: D3D70084 1E12598C
	v_mfma_i32_16x16x32_i8 v[132:135], a[142:143], a[46:47], v[132:135]// 000000003AD8: D3D70084 1E125D8E
	buffer_load_dword v75, s[20:23], 0 offen lds               // 000000003AE0: E0511000 8005004B
	s_add_u32 m0, 0xe00, s50                                   // 000000003AE8: 807C32FF 00000E00
	v_mfma_i32_16x16x32_i8 v[104:107], a[128:129], a[48:49], v[104:107]// 000000003AF0: D3D70068 1DA26180
	v_mfma_i32_16x16x32_i8 v[104:107], a[130:131], a[50:51], v[104:107]// 000000003AF8: D3D70068 1DA26582
	v_mfma_i32_16x16x32_i8 v[104:107], a[132:133], a[52:53], v[104:107]// 000000003B00: D3D70068 1DA26984
	v_mfma_i32_16x16x32_i8 v[104:107], a[134:135], a[54:55], v[104:107]// 000000003B08: D3D70068 1DA26D86
	v_mfma_i32_16x16x32_i8 v[136:139], a[136:137], a[48:49], v[136:139]// 000000003B10: D3D70088 1E226188
	v_mfma_i32_16x16x32_i8 v[136:139], a[138:139], a[50:51], v[136:139]// 000000003B18: D3D70088 1E22658A
	v_mfma_i32_16x16x32_i8 v[136:139], a[140:141], a[52:53], v[136:139]// 000000003B20: D3D70088 1E22698C
	v_mfma_i32_16x16x32_i8 v[136:139], a[142:143], a[54:55], v[136:139]// 000000003B28: D3D70088 1E226D8E
	v_mfma_i32_16x16x32_i8 v[108:111], a[128:129], a[56:57], v[108:111]// 000000003B30: D3D7006C 1DB27180
	v_mfma_i32_16x16x32_i8 v[108:111], a[130:131], a[58:59], v[108:111]// 000000003B38: D3D7006C 1DB27582
	buffer_load_dword v76, s[20:23], 0 offen lds               // 000000003B40: E0511000 8005004C
	s_add_u32 m0, 0xf00, s50                                   // 000000003B48: 807C32FF 00000F00
	v_mfma_i32_16x16x32_i8 v[108:111], a[132:133], a[60:61], v[108:111]// 000000003B50: D3D7006C 1DB27984
	v_mfma_i32_16x16x32_i8 v[108:111], a[134:135], a[62:63], v[108:111]// 000000003B58: D3D7006C 1DB27D86
	buffer_load_dword v77, s[20:23], 0 offen lds               // 000000003B60: E0511000 8005004D
	s_add_u32 m0, 0, s48                                       // 000000003B68: 807C3080
	v_mfma_i32_16x16x32_i8 v[140:143], a[136:137], a[56:57], v[140:143]// 000000003B6C: D3D7008C 1E327188
	v_mfma_i32_16x16x32_i8 v[140:143], a[138:139], a[58:59], v[140:143]// 000000003B74: D3D7008C 1E32758A
	v_mfma_i32_16x16x32_i8 v[140:143], a[140:141], a[60:61], v[140:143]// 000000003B7C: D3D7008C 1E32798C
	v_mfma_i32_16x16x32_i8 v[140:143], a[142:143], a[62:63], v[140:143]// 000000003B84: D3D7008C 1E327D8E
	s_waitcnt vmcnt(20)                                        // 000000003B8C: BF8C4F74
	s_barrier                                                  // 000000003B90: BF8A0000
	v_mfma_i32_16x16x32_i8 v[144:147], a[144:145], a[0:1], v[144:147]// 000000003B94: D3D70090 1E420190
	v_mfma_i32_16x16x32_i8 v[144:147], a[146:147], a[2:3], v[144:147]// 000000003B9C: D3D70090 1E420592
	buffer_load_dwordx4 a[128:131], v78, s[84:87], 0 offen     // 000000003BA4: E05C1000 8095804E
	v_mfma_i32_16x16x32_i8 v[144:147], a[148:149], a[4:5], v[144:147]// 000000003BAC: D3D70090 1E420994
	v_mfma_i32_16x16x32_i8 v[144:147], a[150:151], a[6:7], v[144:147]// 000000003BB4: D3D70090 1E420D96
	ds_read_b128 a[64:67], v2 offset:16512                     // 000000003BBC: DBFE4080 40000002
	ds_read_b128 a[68:71], v2 offset:16576                     // 000000003BC4: DBFE40C0 44000002
	v_mfma_i32_16x16x32_i8 v[176:179], a[152:153], a[0:1], v[176:179]// 000000003BCC: D3D700B0 1EC20198
	v_mfma_i32_16x16x32_i8 v[176:179], a[154:155], a[2:3], v[176:179]// 000000003BD4: D3D700B0 1EC2059A
	buffer_load_dwordx4 a[132:135], v78, s[84:87], 0 offen offset:1024// 000000003BDC: E05C1400 8095844E
	v_mfma_i32_16x16x32_i8 v[176:179], a[156:157], a[4:5], v[176:179]// 000000003BE4: D3D700B0 1EC2099C
	v_mfma_i32_16x16x32_i8 v[176:179], a[158:159], a[6:7], v[176:179]// 000000003BEC: D3D700B0 1EC20D9E
	ds_read_b128 a[72:75], v2 offset:17024                     // 000000003BF4: DBFE4280 48000002
	ds_read_b128 a[76:79], v2 offset:17088                     // 000000003BFC: DBFE42C0 4C000002
	v_mfma_i32_16x16x32_i8 v[148:151], a[144:145], a[8:9], v[148:151]// 000000003C04: D3D70094 1E521190
	v_mfma_i32_16x16x32_i8 v[148:151], a[146:147], a[10:11], v[148:151]// 000000003C0C: D3D70094 1E521592
	buffer_load_dwordx4 a[136:139], v79, s[84:87], 0 offen     // 000000003C14: E05C1000 8095884F
	v_mfma_i32_16x16x32_i8 v[148:151], a[148:149], a[12:13], v[148:151]// 000000003C1C: D3D70094 1E521994
	v_mfma_i32_16x16x32_i8 v[148:151], a[150:151], a[14:15], v[148:151]// 000000003C24: D3D70094 1E521D96
	ds_read_b128 a[80:83], v2 offset:17536                     // 000000003C2C: DBFE4480 50000002
	ds_read_b128 a[84:87], v2 offset:17600                     // 000000003C34: DBFE44C0 54000002
	v_mfma_i32_16x16x32_i8 v[180:183], a[152:153], a[8:9], v[180:183]// 000000003C3C: D3D700B4 1ED21198
	v_mfma_i32_16x16x32_i8 v[180:183], a[154:155], a[10:11], v[180:183]// 000000003C44: D3D700B4 1ED2159A
	buffer_load_dwordx4 a[140:143], v79, s[84:87], 0 offen offset:1024// 000000003C4C: E05C1400 80958C4F
	v_mfma_i32_16x16x32_i8 v[180:183], a[156:157], a[12:13], v[180:183]// 000000003C54: D3D700B4 1ED2199C
	v_mfma_i32_16x16x32_i8 v[180:183], a[158:159], a[14:15], v[180:183]// 000000003C5C: D3D700B4 1ED21D9E
	ds_read_b128 a[88:91], v2 offset:18048                     // 000000003C64: DBFE4680 58000002
	ds_read_b128 a[92:95], v2 offset:18112                     // 000000003C6C: DBFE46C0 5C000002
	v_mfma_i32_16x16x32_i8 v[152:155], a[144:145], a[16:17], v[152:155]// 000000003C74: D3D70098 1E622190
	v_mfma_i32_16x16x32_i8 v[152:155], a[146:147], a[18:19], v[152:155]// 000000003C7C: D3D70098 1E622592
	v_mfma_i32_16x16x32_i8 v[152:155], a[148:149], a[20:21], v[152:155]// 000000003C84: D3D70098 1E622994
	v_mfma_i32_16x16x32_i8 v[152:155], a[150:151], a[22:23], v[152:155]// 000000003C8C: D3D70098 1E622D96
	ds_read_b128 a[96:99], v2 offset:18560                     // 000000003C94: DBFE4880 60000002
	ds_read_b128 a[100:103], v2 offset:18624                   // 000000003C9C: DBFE48C0 64000002
	v_mfma_i32_16x16x32_i8 v[184:187], a[152:153], a[16:17], v[184:187]// 000000003CA4: D3D700B8 1EE22198
	v_mfma_i32_16x16x32_i8 v[184:187], a[154:155], a[18:19], v[184:187]// 000000003CAC: D3D700B8 1EE2259A
	v_mfma_i32_16x16x32_i8 v[184:187], a[156:157], a[20:21], v[184:187]// 000000003CB4: D3D700B8 1EE2299C
	v_mfma_i32_16x16x32_i8 v[184:187], a[158:159], a[22:23], v[184:187]// 000000003CBC: D3D700B8 1EE22D9E
	ds_read_b128 a[104:107], v2 offset:19072                   // 000000003CC4: DBFE4A80 68000002
	ds_read_b128 a[108:111], v2 offset:19136                   // 000000003CCC: DBFE4AC0 6C000002
	v_mfma_i32_16x16x32_i8 v[156:159], a[144:145], a[24:25], v[156:159]// 000000003CD4: D3D7009C 1E723190
	v_mfma_i32_16x16x32_i8 v[156:159], a[146:147], a[26:27], v[156:159]// 000000003CDC: D3D7009C 1E723592
	v_mfma_i32_16x16x32_i8 v[156:159], a[148:149], a[28:29], v[156:159]// 000000003CE4: D3D7009C 1E723994
	v_mfma_i32_16x16x32_i8 v[156:159], a[150:151], a[30:31], v[156:159]// 000000003CEC: D3D7009C 1E723D96
	ds_read_b128 a[112:115], v2 offset:19584                   // 000000003CF4: DBFE4C80 70000002
	ds_read_b128 a[116:119], v2 offset:19648                   // 000000003CFC: DBFE4CC0 74000002
	v_mfma_i32_16x16x32_i8 v[188:191], a[152:153], a[24:25], v[188:191]// 000000003D04: D3D700BC 1EF23198
	v_mfma_i32_16x16x32_i8 v[188:191], a[154:155], a[26:27], v[188:191]// 000000003D0C: D3D700BC 1EF2359A
	v_mfma_i32_16x16x32_i8 v[188:191], a[156:157], a[28:29], v[188:191]// 000000003D14: D3D700BC 1EF2399C
	v_mfma_i32_16x16x32_i8 v[188:191], a[158:159], a[30:31], v[188:191]// 000000003D1C: D3D700BC 1EF23D9E
	ds_read_b128 a[120:123], v2 offset:20096                   // 000000003D24: DBFE4E80 78000002
	ds_read_b128 a[124:127], v2 offset:20160                   // 000000003D2C: DBFE4EC0 7C000002
	v_mfma_i32_16x16x32_i8 v[160:163], a[144:145], a[32:33], v[160:163]// 000000003D34: D3D700A0 1E824190
	v_mfma_i32_16x16x32_i8 v[160:163], a[146:147], a[34:35], v[160:163]// 000000003D3C: D3D700A0 1E824592
	v_mfma_i32_16x16x32_i8 v[160:163], a[148:149], a[36:37], v[160:163]// 000000003D44: D3D700A0 1E824994
	v_mfma_i32_16x16x32_i8 v[160:163], a[150:151], a[38:39], v[160:163]// 000000003D4C: D3D700A0 1E824D96
	v_mfma_i32_16x16x32_i8 v[192:195], a[152:153], a[32:33], v[192:195]// 000000003D54: D3D700C0 1F024198
	v_mfma_i32_16x16x32_i8 v[192:195], a[154:155], a[34:35], v[192:195]// 000000003D5C: D3D700C0 1F02459A
	v_mfma_i32_16x16x32_i8 v[192:195], a[156:157], a[36:37], v[192:195]// 000000003D64: D3D700C0 1F02499C
	v_mfma_i32_16x16x32_i8 v[192:195], a[158:159], a[38:39], v[192:195]// 000000003D6C: D3D700C0 1F024D9E
	v_mfma_i32_16x16x32_i8 v[164:167], a[144:145], a[40:41], v[164:167]// 000000003D74: D3D700A4 1E925190
	v_mfma_i32_16x16x32_i8 v[164:167], a[146:147], a[42:43], v[164:167]// 000000003D7C: D3D700A4 1E925592
	v_mfma_i32_16x16x32_i8 v[164:167], a[148:149], a[44:45], v[164:167]// 000000003D84: D3D700A4 1E925994
	v_mfma_i32_16x16x32_i8 v[164:167], a[150:151], a[46:47], v[164:167]// 000000003D8C: D3D700A4 1E925D96
	v_mfma_i32_16x16x32_i8 v[196:199], a[152:153], a[40:41], v[196:199]// 000000003D94: D3D700C4 1F125198
	v_mfma_i32_16x16x32_i8 v[196:199], a[154:155], a[42:43], v[196:199]// 000000003D9C: D3D700C4 1F12559A
	v_mfma_i32_16x16x32_i8 v[196:199], a[156:157], a[44:45], v[196:199]// 000000003DA4: D3D700C4 1F12599C
	v_mfma_i32_16x16x32_i8 v[196:199], a[158:159], a[46:47], v[196:199]// 000000003DAC: D3D700C4 1F125D9E
	v_mfma_i32_16x16x32_i8 v[168:171], a[144:145], a[48:49], v[168:171]// 000000003DB4: D3D700A8 1EA26190
	v_mfma_i32_16x16x32_i8 v[168:171], a[146:147], a[50:51], v[168:171]// 000000003DBC: D3D700A8 1EA26592
	v_mfma_i32_16x16x32_i8 v[168:171], a[148:149], a[52:53], v[168:171]// 000000003DC4: D3D700A8 1EA26994
	v_mfma_i32_16x16x32_i8 v[168:171], a[150:151], a[54:55], v[168:171]// 000000003DCC: D3D700A8 1EA26D96
	v_mfma_i32_16x16x32_i8 v[200:203], a[152:153], a[48:49], v[200:203]// 000000003DD4: D3D700C8 1F226198
	v_mfma_i32_16x16x32_i8 v[200:203], a[154:155], a[50:51], v[200:203]// 000000003DDC: D3D700C8 1F22659A
	v_mfma_i32_16x16x32_i8 v[200:203], a[156:157], a[52:53], v[200:203]// 000000003DE4: D3D700C8 1F22699C
	v_mfma_i32_16x16x32_i8 v[200:203], a[158:159], a[54:55], v[200:203]// 000000003DEC: D3D700C8 1F226D9E
	v_mfma_i32_16x16x32_i8 v[172:175], a[144:145], a[56:57], v[172:175]// 000000003DF4: D3D700AC 1EB27190
	s_add_u32 s60, 0x180, s80                                  // 000000003DFC: 803C50FF 00000180
	s_cmp_lt_u32 s60, s81                                      // 000000003E04: BF0A513C
	s_cselect_b32 s57, s57, 0                                  // 000000003E08: 85398039
	v_mfma_i32_16x16x32_i8 v[172:175], a[146:147], a[58:59], v[172:175]// 000000003E0C: D3D700AC 1EB27592
	s_add_u32 s60, 0x100, s80                                  // 000000003E14: 803C50FF 00000100
	s_cmp_lt_u32 s60, s81                                      // 000000003E1C: BF0A513C
	s_cselect_b32 s58, s58, 0                                  // 000000003E20: 853A803A
	v_mfma_i32_16x16x32_i8 v[172:175], a[148:149], a[60:61], v[172:175]// 000000003E24: D3D700AC 1EB27994
	s_add_u32 s60, 0x100, s80                                  // 000000003E2C: 803C50FF 00000100
	s_cmp_lt_u32 s60, s81                                      // 000000003E34: BF0A513C
	s_cselect_b32 s83, s83, 0                                  // 000000003E38: 85538053
	v_mfma_i32_16x16x32_i8 v[172:175], a[150:151], a[62:63], v[172:175]// 000000003E3C: D3D700AC 1EB27D96
	s_add_u32 s24, s58, s24                                    // 000000003E44: 8018183A
	s_addc_u32 s25, 0, s25                                     // 000000003E48: 82191980
	v_mfma_i32_16x16x32_i8 v[204:207], a[152:153], a[56:57], v[204:207]// 000000003E4C: D3D700CC 1F327198
	s_add_u32 s20, s57, s20                                    // 000000003E54: 80141439
	s_addc_u32 s21, 0, s21                                     // 000000003E58: 82151580
	v_mfma_i32_16x16x32_i8 v[204:207], a[154:155], a[58:59], v[204:207]// 000000003E5C: D3D700CC 1F32759A
	s_add_u32 s84, s83, s84                                    // 000000003E64: 80545453
	s_addc_u32 s85, 0, s85                                     // 000000003E68: 82555580
	v_mfma_i32_16x16x32_i8 v[204:207], a[156:157], a[60:61], v[204:207]// 000000003E6C: D3D700CC 1F32799C
	v_mfma_i32_16x16x32_i8 v[204:207], a[158:159], a[62:63], v[204:207]// 000000003E74: D3D700CC 1F327D9E
	s_addk_i32 s80, 0x80                                       // 000000003E7C: B7500080
	s_cmp_lt_i32 s80, s81                                      // 000000003E80: BF045150
	s_cbranch_scc0 label_0CC6                                  // 000000003E84: BF8407A4
	s_waitcnt vmcnt(20) lgkmcnt(0)                             // 000000003E88: BF8C4074
	v_mfma_i32_16x16x32_i8 v[80:83], a[160:161], a[64:65], v[80:83]// 000000003E8C: D3D70050 1D4281A0
	v_mfma_i32_16x16x32_i8 v[80:83], a[162:163], a[66:67], v[80:83]// 000000003E94: D3D70050 1D4285A2
	buffer_load_dwordx4 a[144:147], v78, s[24:27], 0 offen     // 000000003E9C: E05C1000 8086904E
	v_mfma_i32_16x16x32_i8 v[80:83], a[164:165], a[68:69], v[80:83]// 000000003EA4: D3D70050 1D4289A4
	v_mfma_i32_16x16x32_i8 v[80:83], a[166:167], a[70:71], v[80:83]// 000000003EAC: D3D70050 1D428DA6
	v_mfma_i32_16x16x32_i8 v[112:115], a[168:169], a[64:65], v[112:115]// 000000003EB4: D3D70070 1DC281A8
	v_mfma_i32_16x16x32_i8 v[112:115], a[170:171], a[66:67], v[112:115]// 000000003EBC: D3D70070 1DC285AA
	buffer_load_dwordx4 a[148:151], v78, s[24:27], 0 offen offset:1024// 000000003EC4: E05C1400 8086944E
	v_mfma_i32_16x16x32_i8 v[112:115], a[172:173], a[68:69], v[112:115]// 000000003ECC: D3D70070 1DC289AC
	v_mfma_i32_16x16x32_i8 v[112:115], a[174:175], a[70:71], v[112:115]// 000000003ED4: D3D70070 1DC28DAE
	v_mfma_i32_16x16x32_i8 v[84:87], a[160:161], a[72:73], v[84:87]// 000000003EDC: D3D70054 1D5291A0
	v_mfma_i32_16x16x32_i8 v[84:87], a[162:163], a[74:75], v[84:87]// 000000003EE4: D3D70054 1D5295A2
	buffer_load_dwordx4 a[152:155], v79, s[24:27], 0 offen     // 000000003EEC: E05C1000 8086984F
	v_mfma_i32_16x16x32_i8 v[84:87], a[164:165], a[76:77], v[84:87]// 000000003EF4: D3D70054 1D5299A4
	v_mfma_i32_16x16x32_i8 v[84:87], a[166:167], a[78:79], v[84:87]// 000000003EFC: D3D70054 1D529DA6
	v_mfma_i32_16x16x32_i8 v[116:119], a[168:169], a[72:73], v[116:119]// 000000003F04: D3D70074 1DD291A8
	v_mfma_i32_16x16x32_i8 v[116:119], a[170:171], a[74:75], v[116:119]// 000000003F0C: D3D70074 1DD295AA
	buffer_load_dwordx4 a[156:159], v79, s[24:27], 0 offen offset:1024// 000000003F14: E05C1400 80869C4F
	buffer_load_dword v62, s[20:23], 0 offen lds               // 000000003F1C: E0511000 8005003E
	s_add_u32 m0, 0x100, s48                                   // 000000003F24: 807C30FF 00000100
	v_mfma_i32_16x16x32_i8 v[116:119], a[172:173], a[76:77], v[116:119]// 000000003F2C: D3D70074 1DD299AC
	v_mfma_i32_16x16x32_i8 v[116:119], a[174:175], a[78:79], v[116:119]// 000000003F34: D3D70074 1DD29DAE
	buffer_load_dword v63, s[20:23], 0 offen lds               // 000000003F3C: E0511000 8005003F
	s_add_u32 m0, 0x200, s48                                   // 000000003F44: 807C30FF 00000200
	v_mfma_i32_16x16x32_i8 v[88:91], a[160:161], a[80:81], v[88:91]// 000000003F4C: D3D70058 1D62A1A0
	v_mfma_i32_16x16x32_i8 v[88:91], a[162:163], a[82:83], v[88:91]// 000000003F54: D3D70058 1D62A5A2
	buffer_load_dword v64, s[20:23], 0 offen lds               // 000000003F5C: E0511000 80050040
	s_add_u32 m0, 0x300, s48                                   // 000000003F64: 807C30FF 00000300
	v_mfma_i32_16x16x32_i8 v[88:91], a[164:165], a[84:85], v[88:91]// 000000003F6C: D3D70058 1D62A9A4
	v_mfma_i32_16x16x32_i8 v[88:91], a[166:167], a[86:87], v[88:91]// 000000003F74: D3D70058 1D62ADA6
	buffer_load_dword v65, s[20:23], 0 offen lds               // 000000003F7C: E0511000 80050041
	s_add_u32 m0, 0x400, s48                                   // 000000003F84: 807C30FF 00000400
	v_mfma_i32_16x16x32_i8 v[120:123], a[168:169], a[80:81], v[120:123]// 000000003F8C: D3D70078 1DE2A1A8
	v_mfma_i32_16x16x32_i8 v[120:123], a[170:171], a[82:83], v[120:123]// 000000003F94: D3D70078 1DE2A5AA
	buffer_load_dword v66, s[20:23], 0 offen lds               // 000000003F9C: E0511000 80050042
	s_add_u32 m0, 0x500, s48                                   // 000000003FA4: 807C30FF 00000500
	v_mfma_i32_16x16x32_i8 v[120:123], a[172:173], a[84:85], v[120:123]// 000000003FAC: D3D70078 1DE2A9AC
	v_mfma_i32_16x16x32_i8 v[120:123], a[174:175], a[86:87], v[120:123]// 000000003FB4: D3D70078 1DE2ADAE
	buffer_load_dword v67, s[20:23], 0 offen lds               // 000000003FBC: E0511000 80050043
	s_add_u32 m0, 0x600, s48                                   // 000000003FC4: 807C30FF 00000600
	v_mfma_i32_16x16x32_i8 v[92:95], a[160:161], a[88:89], v[92:95]// 000000003FCC: D3D7005C 1D72B1A0
	v_mfma_i32_16x16x32_i8 v[92:95], a[162:163], a[90:91], v[92:95]// 000000003FD4: D3D7005C 1D72B5A2
	buffer_load_dword v68, s[20:23], 0 offen lds               // 000000003FDC: E0511000 80050044
	s_add_u32 m0, 0x700, s48                                   // 000000003FE4: 807C30FF 00000700
	v_mfma_i32_16x16x32_i8 v[92:95], a[164:165], a[92:93], v[92:95]// 000000003FEC: D3D7005C 1D72B9A4
	v_mfma_i32_16x16x32_i8 v[92:95], a[166:167], a[94:95], v[92:95]// 000000003FF4: D3D7005C 1D72BDA6
	buffer_load_dword v69, s[20:23], 0 offen lds               // 000000003FFC: E0511000 80050045
	s_add_u32 m0, 0x800, s48                                   // 000000004004: 807C30FF 00000800
	v_mfma_i32_16x16x32_i8 v[124:127], a[168:169], a[88:89], v[124:127]// 00000000400C: D3D7007C 1DF2B1A8
	v_mfma_i32_16x16x32_i8 v[124:127], a[170:171], a[90:91], v[124:127]// 000000004014: D3D7007C 1DF2B5AA
	buffer_load_dword v70, s[20:23], 0 offen lds               // 00000000401C: E0511000 80050046
	s_add_u32 m0, 0x900, s48                                   // 000000004024: 807C30FF 00000900
	v_mfma_i32_16x16x32_i8 v[124:127], a[172:173], a[92:93], v[124:127]// 00000000402C: D3D7007C 1DF2B9AC
	v_mfma_i32_16x16x32_i8 v[124:127], a[174:175], a[94:95], v[124:127]// 000000004034: D3D7007C 1DF2BDAE
	buffer_load_dword v71, s[20:23], 0 offen lds               // 00000000403C: E0511000 80050047
	s_add_u32 m0, 0xa00, s48                                   // 000000004044: 807C30FF 00000A00
	v_mfma_i32_16x16x32_i8 v[96:99], a[160:161], a[96:97], v[96:99]// 00000000404C: D3D70060 1D82C1A0
	v_mfma_i32_16x16x32_i8 v[96:99], a[162:163], a[98:99], v[96:99]// 000000004054: D3D70060 1D82C5A2
	v_mfma_i32_16x16x32_i8 v[96:99], a[164:165], a[100:101], v[96:99]// 00000000405C: D3D70060 1D82C9A4
	v_mfma_i32_16x16x32_i8 v[96:99], a[166:167], a[102:103], v[96:99]// 000000004064: D3D70060 1D82CDA6
	v_mfma_i32_16x16x32_i8 v[128:131], a[168:169], a[96:97], v[128:131]// 00000000406C: D3D70080 1E02C1A8
	v_mfma_i32_16x16x32_i8 v[128:131], a[170:171], a[98:99], v[128:131]// 000000004074: D3D70080 1E02C5AA
	v_mfma_i32_16x16x32_i8 v[128:131], a[172:173], a[100:101], v[128:131]// 00000000407C: D3D70080 1E02C9AC
	v_mfma_i32_16x16x32_i8 v[128:131], a[174:175], a[102:103], v[128:131]// 000000004084: D3D70080 1E02CDAE
	v_mfma_i32_16x16x32_i8 v[100:103], a[160:161], a[104:105], v[100:103]// 00000000408C: D3D70064 1D92D1A0
	v_mfma_i32_16x16x32_i8 v[100:103], a[162:163], a[106:107], v[100:103]// 000000004094: D3D70064 1D92D5A2
	buffer_load_dword v72, s[20:23], 0 offen lds               // 00000000409C: E0511000 80050048
	s_add_u32 m0, 0xb00, s48                                   // 0000000040A4: 807C30FF 00000B00
	v_mfma_i32_16x16x32_i8 v[100:103], a[164:165], a[108:109], v[100:103]// 0000000040AC: D3D70064 1D92D9A4
	v_mfma_i32_16x16x32_i8 v[100:103], a[166:167], a[110:111], v[100:103]// 0000000040B4: D3D70064 1D92DDA6
	buffer_load_dword v73, s[20:23], 0 offen lds               // 0000000040BC: E0511000 80050049
	s_add_u32 m0, 0xc00, s48                                   // 0000000040C4: 807C30FF 00000C00
	v_mfma_i32_16x16x32_i8 v[132:135], a[168:169], a[104:105], v[132:135]// 0000000040CC: D3D70084 1E12D1A8
	v_mfma_i32_16x16x32_i8 v[132:135], a[170:171], a[106:107], v[132:135]// 0000000040D4: D3D70084 1E12D5AA
	buffer_load_dword v74, s[20:23], 0 offen lds               // 0000000040DC: E0511000 8005004A
	s_add_u32 m0, 0xd00, s48                                   // 0000000040E4: 807C30FF 00000D00
	v_mfma_i32_16x16x32_i8 v[132:135], a[172:173], a[108:109], v[132:135]// 0000000040EC: D3D70084 1E12D9AC
	v_mfma_i32_16x16x32_i8 v[132:135], a[174:175], a[110:111], v[132:135]// 0000000040F4: D3D70084 1E12DDAE
	buffer_load_dword v75, s[20:23], 0 offen lds               // 0000000040FC: E0511000 8005004B
	s_add_u32 m0, 0xe00, s48                                   // 000000004104: 807C30FF 00000E00
	v_mfma_i32_16x16x32_i8 v[104:107], a[160:161], a[112:113], v[104:107]// 00000000410C: D3D70068 1DA2E1A0
	v_mfma_i32_16x16x32_i8 v[104:107], a[162:163], a[114:115], v[104:107]// 000000004114: D3D70068 1DA2E5A2
	v_mfma_i32_16x16x32_i8 v[104:107], a[164:165], a[116:117], v[104:107]// 00000000411C: D3D70068 1DA2E9A4
	v_mfma_i32_16x16x32_i8 v[104:107], a[166:167], a[118:119], v[104:107]// 000000004124: D3D70068 1DA2EDA6
	v_mfma_i32_16x16x32_i8 v[136:139], a[168:169], a[112:113], v[136:139]// 00000000412C: D3D70088 1E22E1A8
	v_mfma_i32_16x16x32_i8 v[136:139], a[170:171], a[114:115], v[136:139]// 000000004134: D3D70088 1E22E5AA
	v_mfma_i32_16x16x32_i8 v[136:139], a[172:173], a[116:117], v[136:139]// 00000000413C: D3D70088 1E22E9AC
	v_mfma_i32_16x16x32_i8 v[136:139], a[174:175], a[118:119], v[136:139]// 000000004144: D3D70088 1E22EDAE
	v_mfma_i32_16x16x32_i8 v[108:111], a[160:161], a[120:121], v[108:111]// 00000000414C: D3D7006C 1DB2F1A0
	v_mfma_i32_16x16x32_i8 v[108:111], a[162:163], a[122:123], v[108:111]// 000000004154: D3D7006C 1DB2F5A2
	buffer_load_dword v76, s[20:23], 0 offen lds               // 00000000415C: E0511000 8005004C
	s_add_u32 m0, 0xf00, s48                                   // 000000004164: 807C30FF 00000F00
	v_mfma_i32_16x16x32_i8 v[108:111], a[164:165], a[124:125], v[108:111]// 00000000416C: D3D7006C 1DB2F9A4
	v_mfma_i32_16x16x32_i8 v[108:111], a[166:167], a[126:127], v[108:111]// 000000004174: D3D7006C 1DB2FDA6
	buffer_load_dword v77, s[20:23], 0 offen lds               // 00000000417C: E0511000 8005004D
	s_add_u32 m0, 0, s49                                       // 000000004184: 807C3180
	v_mfma_i32_16x16x32_i8 v[140:143], a[168:169], a[120:121], v[140:143]// 000000004188: D3D7008C 1E32F1A8
	v_mfma_i32_16x16x32_i8 v[140:143], a[170:171], a[122:123], v[140:143]// 000000004190: D3D7008C 1E32F5AA
	v_mfma_i32_16x16x32_i8 v[140:143], a[172:173], a[124:125], v[140:143]// 000000004198: D3D7008C 1E32F9AC
	v_mfma_i32_16x16x32_i8 v[140:143], a[174:175], a[126:127], v[140:143]// 0000000041A0: D3D7008C 1E32FDAE
	s_waitcnt vmcnt(20)                                        // 0000000041A8: BF8C4F74
	s_barrier                                                  // 0000000041AC: BF8A0000
	v_mfma_i32_16x16x32_i8 v[144:147], a[128:129], a[64:65], v[144:147]// 0000000041B0: D3D70090 1E428180
	v_mfma_i32_16x16x32_i8 v[144:147], a[130:131], a[66:67], v[144:147]// 0000000041B8: D3D70090 1E428582
	buffer_load_dwordx4 a[160:163], v78, s[84:87], 0 offen     // 0000000041C0: E05C1000 8095A04E
	v_mfma_i32_16x16x32_i8 v[144:147], a[132:133], a[68:69], v[144:147]// 0000000041C8: D3D70090 1E428984
	v_mfma_i32_16x16x32_i8 v[144:147], a[134:135], a[70:71], v[144:147]// 0000000041D0: D3D70090 1E428D86
	ds_read_b128 a[0:3], v2 offset:33024                       // 0000000041D8: DBFE8100 00000002
	ds_read_b128 a[4:7], v2 offset:33088                       // 0000000041E0: DBFE8140 04000002
	v_mfma_i32_16x16x32_i8 v[176:179], a[136:137], a[64:65], v[176:179]// 0000000041E8: D3D700B0 1EC28188
	v_mfma_i32_16x16x32_i8 v[176:179], a[138:139], a[66:67], v[176:179]// 0000000041F0: D3D700B0 1EC2858A
	buffer_load_dwordx4 a[164:167], v78, s[84:87], 0 offen offset:1024// 0000000041F8: E05C1400 8095A44E
	v_mfma_i32_16x16x32_i8 v[176:179], a[140:141], a[68:69], v[176:179]// 000000004200: D3D700B0 1EC2898C
	v_mfma_i32_16x16x32_i8 v[176:179], a[142:143], a[70:71], v[176:179]// 000000004208: D3D700B0 1EC28D8E
	ds_read_b128 a[8:11], v2 offset:33536                      // 000000004210: DBFE8300 08000002
	ds_read_b128 a[12:15], v2 offset:33600                     // 000000004218: DBFE8340 0C000002
	v_mfma_i32_16x16x32_i8 v[148:151], a[128:129], a[72:73], v[148:151]// 000000004220: D3D70094 1E529180
	v_mfma_i32_16x16x32_i8 v[148:151], a[130:131], a[74:75], v[148:151]// 000000004228: D3D70094 1E529582
	buffer_load_dwordx4 a[168:171], v79, s[84:87], 0 offen     // 000000004230: E05C1000 8095A84F
	v_mfma_i32_16x16x32_i8 v[148:151], a[132:133], a[76:77], v[148:151]// 000000004238: D3D70094 1E529984
	v_mfma_i32_16x16x32_i8 v[148:151], a[134:135], a[78:79], v[148:151]// 000000004240: D3D70094 1E529D86
	ds_read_b128 a[16:19], v2 offset:34048                     // 000000004248: DBFE8500 10000002
	ds_read_b128 a[20:23], v2 offset:34112                     // 000000004250: DBFE8540 14000002
	v_mfma_i32_16x16x32_i8 v[180:183], a[136:137], a[72:73], v[180:183]// 000000004258: D3D700B4 1ED29188
	v_mfma_i32_16x16x32_i8 v[180:183], a[138:139], a[74:75], v[180:183]// 000000004260: D3D700B4 1ED2958A
	buffer_load_dwordx4 a[172:175], v79, s[84:87], 0 offen offset:1024// 000000004268: E05C1400 8095AC4F
	v_mfma_i32_16x16x32_i8 v[180:183], a[140:141], a[76:77], v[180:183]// 000000004270: D3D700B4 1ED2998C
	v_mfma_i32_16x16x32_i8 v[180:183], a[142:143], a[78:79], v[180:183]// 000000004278: D3D700B4 1ED29D8E
	ds_read_b128 a[24:27], v2 offset:34560                     // 000000004280: DBFE8700 18000002
	ds_read_b128 a[28:31], v2 offset:34624                     // 000000004288: DBFE8740 1C000002
	v_mfma_i32_16x16x32_i8 v[152:155], a[128:129], a[80:81], v[152:155]// 000000004290: D3D70098 1E62A180
	v_mfma_i32_16x16x32_i8 v[152:155], a[130:131], a[82:83], v[152:155]// 000000004298: D3D70098 1E62A582
	v_mfma_i32_16x16x32_i8 v[152:155], a[132:133], a[84:85], v[152:155]// 0000000042A0: D3D70098 1E62A984
	v_mfma_i32_16x16x32_i8 v[152:155], a[134:135], a[86:87], v[152:155]// 0000000042A8: D3D70098 1E62AD86
	ds_read_b128 a[32:35], v2 offset:35072                     // 0000000042B0: DBFE8900 20000002
	ds_read_b128 a[36:39], v2 offset:35136                     // 0000000042B8: DBFE8940 24000002
	v_mfma_i32_16x16x32_i8 v[184:187], a[136:137], a[80:81], v[184:187]// 0000000042C0: D3D700B8 1EE2A188
	v_mfma_i32_16x16x32_i8 v[184:187], a[138:139], a[82:83], v[184:187]// 0000000042C8: D3D700B8 1EE2A58A
	v_mfma_i32_16x16x32_i8 v[184:187], a[140:141], a[84:85], v[184:187]// 0000000042D0: D3D700B8 1EE2A98C
	v_mfma_i32_16x16x32_i8 v[184:187], a[142:143], a[86:87], v[184:187]// 0000000042D8: D3D700B8 1EE2AD8E
	ds_read_b128 a[40:43], v2 offset:35584                     // 0000000042E0: DBFE8B00 28000002
	ds_read_b128 a[44:47], v2 offset:35648                     // 0000000042E8: DBFE8B40 2C000002
	v_mfma_i32_16x16x32_i8 v[156:159], a[128:129], a[88:89], v[156:159]// 0000000042F0: D3D7009C 1E72B180
	v_mfma_i32_16x16x32_i8 v[156:159], a[130:131], a[90:91], v[156:159]// 0000000042F8: D3D7009C 1E72B582
	v_mfma_i32_16x16x32_i8 v[156:159], a[132:133], a[92:93], v[156:159]// 000000004300: D3D7009C 1E72B984
	v_mfma_i32_16x16x32_i8 v[156:159], a[134:135], a[94:95], v[156:159]// 000000004308: D3D7009C 1E72BD86
	ds_read_b128 a[48:51], v2 offset:36096                     // 000000004310: DBFE8D00 30000002
	ds_read_b128 a[52:55], v2 offset:36160                     // 000000004318: DBFE8D40 34000002
	v_mfma_i32_16x16x32_i8 v[188:191], a[136:137], a[88:89], v[188:191]// 000000004320: D3D700BC 1EF2B188
	v_mfma_i32_16x16x32_i8 v[188:191], a[138:139], a[90:91], v[188:191]// 000000004328: D3D700BC 1EF2B58A
	v_mfma_i32_16x16x32_i8 v[188:191], a[140:141], a[92:93], v[188:191]// 000000004330: D3D700BC 1EF2B98C
	v_mfma_i32_16x16x32_i8 v[188:191], a[142:143], a[94:95], v[188:191]// 000000004338: D3D700BC 1EF2BD8E
	ds_read_b128 a[56:59], v2 offset:36608                     // 000000004340: DBFE8F00 38000002
	ds_read_b128 a[60:63], v2 offset:36672                     // 000000004348: DBFE8F40 3C000002
	v_mfma_i32_16x16x32_i8 v[160:163], a[128:129], a[96:97], v[160:163]// 000000004350: D3D700A0 1E82C180
	v_mfma_i32_16x16x32_i8 v[160:163], a[130:131], a[98:99], v[160:163]// 000000004358: D3D700A0 1E82C582
	v_mfma_i32_16x16x32_i8 v[160:163], a[132:133], a[100:101], v[160:163]// 000000004360: D3D700A0 1E82C984
	v_mfma_i32_16x16x32_i8 v[160:163], a[134:135], a[102:103], v[160:163]// 000000004368: D3D700A0 1E82CD86
	v_mfma_i32_16x16x32_i8 v[192:195], a[136:137], a[96:97], v[192:195]// 000000004370: D3D700C0 1F02C188
	v_mfma_i32_16x16x32_i8 v[192:195], a[138:139], a[98:99], v[192:195]// 000000004378: D3D700C0 1F02C58A
	v_mfma_i32_16x16x32_i8 v[192:195], a[140:141], a[100:101], v[192:195]// 000000004380: D3D700C0 1F02C98C
	v_mfma_i32_16x16x32_i8 v[192:195], a[142:143], a[102:103], v[192:195]// 000000004388: D3D700C0 1F02CD8E
	v_mfma_i32_16x16x32_i8 v[164:167], a[128:129], a[104:105], v[164:167]// 000000004390: D3D700A4 1E92D180
	v_mfma_i32_16x16x32_i8 v[164:167], a[130:131], a[106:107], v[164:167]// 000000004398: D3D700A4 1E92D582
	v_mfma_i32_16x16x32_i8 v[164:167], a[132:133], a[108:109], v[164:167]// 0000000043A0: D3D700A4 1E92D984
	v_mfma_i32_16x16x32_i8 v[164:167], a[134:135], a[110:111], v[164:167]// 0000000043A8: D3D700A4 1E92DD86
	v_mfma_i32_16x16x32_i8 v[196:199], a[136:137], a[104:105], v[196:199]// 0000000043B0: D3D700C4 1F12D188
	v_mfma_i32_16x16x32_i8 v[196:199], a[138:139], a[106:107], v[196:199]// 0000000043B8: D3D700C4 1F12D58A
	v_mfma_i32_16x16x32_i8 v[196:199], a[140:141], a[108:109], v[196:199]// 0000000043C0: D3D700C4 1F12D98C
	v_mfma_i32_16x16x32_i8 v[196:199], a[142:143], a[110:111], v[196:199]// 0000000043C8: D3D700C4 1F12DD8E
	v_mfma_i32_16x16x32_i8 v[168:171], a[128:129], a[112:113], v[168:171]// 0000000043D0: D3D700A8 1EA2E180
	v_mfma_i32_16x16x32_i8 v[168:171], a[130:131], a[114:115], v[168:171]// 0000000043D8: D3D700A8 1EA2E582
	v_mfma_i32_16x16x32_i8 v[168:171], a[132:133], a[116:117], v[168:171]// 0000000043E0: D3D700A8 1EA2E984
	v_mfma_i32_16x16x32_i8 v[168:171], a[134:135], a[118:119], v[168:171]// 0000000043E8: D3D700A8 1EA2ED86
	v_mfma_i32_16x16x32_i8 v[200:203], a[136:137], a[112:113], v[200:203]// 0000000043F0: D3D700C8 1F22E188
	v_mfma_i32_16x16x32_i8 v[200:203], a[138:139], a[114:115], v[200:203]// 0000000043F8: D3D700C8 1F22E58A
	v_mfma_i32_16x16x32_i8 v[200:203], a[140:141], a[116:117], v[200:203]// 000000004400: D3D700C8 1F22E98C
	v_mfma_i32_16x16x32_i8 v[200:203], a[142:143], a[118:119], v[200:203]// 000000004408: D3D700C8 1F22ED8E
	v_mfma_i32_16x16x32_i8 v[172:175], a[128:129], a[120:121], v[172:175]// 000000004410: D3D700AC 1EB2F180
	s_add_u32 s60, 0x180, s80                                  // 000000004418: 803C50FF 00000180
	s_cmp_lt_u32 s60, s81                                      // 000000004420: BF0A513C
	s_cselect_b32 s57, s57, 0                                  // 000000004424: 85398039
	v_mfma_i32_16x16x32_i8 v[172:175], a[130:131], a[122:123], v[172:175]// 000000004428: D3D700AC 1EB2F582
	s_add_u32 s60, 0x100, s80                                  // 000000004430: 803C50FF 00000100
	s_cmp_lt_u32 s60, s81                                      // 000000004438: BF0A513C
	s_cselect_b32 s58, s58, 0                                  // 00000000443C: 853A803A
	v_mfma_i32_16x16x32_i8 v[172:175], a[132:133], a[124:125], v[172:175]// 000000004440: D3D700AC 1EB2F984
	s_add_u32 s60, 0x100, s80                                  // 000000004448: 803C50FF 00000100
	s_cmp_lt_u32 s60, s81                                      // 000000004450: BF0A513C
	s_cselect_b32 s83, s83, 0                                  // 000000004454: 85538053
	v_mfma_i32_16x16x32_i8 v[172:175], a[134:135], a[126:127], v[172:175]// 000000004458: D3D700AC 1EB2FD86
	s_add_u32 s24, s58, s24                                    // 000000004460: 8018183A
	s_addc_u32 s25, 0, s25                                     // 000000004464: 82191980
	v_mfma_i32_16x16x32_i8 v[204:207], a[136:137], a[120:121], v[204:207]// 000000004468: D3D700CC 1F32F188
	s_add_u32 s20, s57, s20                                    // 000000004470: 80141439
	s_addc_u32 s21, 0, s21                                     // 000000004474: 82151580
	v_mfma_i32_16x16x32_i8 v[204:207], a[138:139], a[122:123], v[204:207]// 000000004478: D3D700CC 1F32F58A
	s_add_u32 s84, s83, s84                                    // 000000004480: 80545453
	s_addc_u32 s85, 0, s85                                     // 000000004484: 82555580
	v_mfma_i32_16x16x32_i8 v[204:207], a[140:141], a[124:125], v[204:207]// 000000004488: D3D700CC 1F32F98C
	v_mfma_i32_16x16x32_i8 v[204:207], a[142:143], a[126:127], v[204:207]// 000000004490: D3D700CC 1F32FD8E
	s_addk_i32 s80, 0x80                                       // 000000004498: B7500080
	s_cmp_lt_i32 s80, s81                                      // 00000000449C: BF045150
	s_cbranch_scc0 label_0CC6                                  // 0000000044A0: BF84061D
	s_waitcnt vmcnt(20) lgkmcnt(0)                             // 0000000044A4: BF8C4074
	v_mfma_i32_16x16x32_i8 v[80:83], a[144:145], a[0:1], v[80:83]// 0000000044A8: D3D70050 1D420190
	v_mfma_i32_16x16x32_i8 v[80:83], a[146:147], a[2:3], v[80:83]// 0000000044B0: D3D70050 1D420592
	buffer_load_dwordx4 a[128:131], v78, s[24:27], 0 offen     // 0000000044B8: E05C1000 8086804E
	v_mfma_i32_16x16x32_i8 v[80:83], a[148:149], a[4:5], v[80:83]// 0000000044C0: D3D70050 1D420994
	v_mfma_i32_16x16x32_i8 v[80:83], a[150:151], a[6:7], v[80:83]// 0000000044C8: D3D70050 1D420D96
	v_mfma_i32_16x16x32_i8 v[112:115], a[152:153], a[0:1], v[112:115]// 0000000044D0: D3D70070 1DC20198
	v_mfma_i32_16x16x32_i8 v[112:115], a[154:155], a[2:3], v[112:115]// 0000000044D8: D3D70070 1DC2059A
	buffer_load_dwordx4 a[132:135], v78, s[24:27], 0 offen offset:1024// 0000000044E0: E05C1400 8086844E
	v_mfma_i32_16x16x32_i8 v[112:115], a[156:157], a[4:5], v[112:115]// 0000000044E8: D3D70070 1DC2099C
	v_mfma_i32_16x16x32_i8 v[112:115], a[158:159], a[6:7], v[112:115]// 0000000044F0: D3D70070 1DC20D9E
	v_mfma_i32_16x16x32_i8 v[84:87], a[144:145], a[8:9], v[84:87]// 0000000044F8: D3D70054 1D521190
	v_mfma_i32_16x16x32_i8 v[84:87], a[146:147], a[10:11], v[84:87]// 000000004500: D3D70054 1D521592
	buffer_load_dwordx4 a[136:139], v79, s[24:27], 0 offen     // 000000004508: E05C1000 8086884F
	v_mfma_i32_16x16x32_i8 v[84:87], a[148:149], a[12:13], v[84:87]// 000000004510: D3D70054 1D521994
	v_mfma_i32_16x16x32_i8 v[84:87], a[150:151], a[14:15], v[84:87]// 000000004518: D3D70054 1D521D96
	v_mfma_i32_16x16x32_i8 v[116:119], a[152:153], a[8:9], v[116:119]// 000000004520: D3D70074 1DD21198
	v_mfma_i32_16x16x32_i8 v[116:119], a[154:155], a[10:11], v[116:119]// 000000004528: D3D70074 1DD2159A
	buffer_load_dwordx4 a[140:143], v79, s[24:27], 0 offen offset:1024// 000000004530: E05C1400 80868C4F
	buffer_load_dword v62, s[20:23], 0 offen lds               // 000000004538: E0511000 8005003E
	s_add_u32 m0, 0x100, s49                                   // 000000004540: 807C31FF 00000100
	v_mfma_i32_16x16x32_i8 v[116:119], a[156:157], a[12:13], v[116:119]// 000000004548: D3D70074 1DD2199C
	v_mfma_i32_16x16x32_i8 v[116:119], a[158:159], a[14:15], v[116:119]// 000000004550: D3D70074 1DD21D9E
	buffer_load_dword v63, s[20:23], 0 offen lds               // 000000004558: E0511000 8005003F
	s_add_u32 m0, 0x200, s49                                   // 000000004560: 807C31FF 00000200
	v_mfma_i32_16x16x32_i8 v[88:91], a[144:145], a[16:17], v[88:91]// 000000004568: D3D70058 1D622190
	v_mfma_i32_16x16x32_i8 v[88:91], a[146:147], a[18:19], v[88:91]// 000000004570: D3D70058 1D622592
	buffer_load_dword v64, s[20:23], 0 offen lds               // 000000004578: E0511000 80050040
	s_add_u32 m0, 0x300, s49                                   // 000000004580: 807C31FF 00000300
	v_mfma_i32_16x16x32_i8 v[88:91], a[148:149], a[20:21], v[88:91]// 000000004588: D3D70058 1D622994
	v_mfma_i32_16x16x32_i8 v[88:91], a[150:151], a[22:23], v[88:91]// 000000004590: D3D70058 1D622D96
	buffer_load_dword v65, s[20:23], 0 offen lds               // 000000004598: E0511000 80050041
	s_add_u32 m0, 0x400, s49                                   // 0000000045A0: 807C31FF 00000400
	v_mfma_i32_16x16x32_i8 v[120:123], a[152:153], a[16:17], v[120:123]// 0000000045A8: D3D70078 1DE22198
	v_mfma_i32_16x16x32_i8 v[120:123], a[154:155], a[18:19], v[120:123]// 0000000045B0: D3D70078 1DE2259A
	buffer_load_dword v66, s[20:23], 0 offen lds               // 0000000045B8: E0511000 80050042
	s_add_u32 m0, 0x500, s49                                   // 0000000045C0: 807C31FF 00000500
	v_mfma_i32_16x16x32_i8 v[120:123], a[156:157], a[20:21], v[120:123]// 0000000045C8: D3D70078 1DE2299C
	v_mfma_i32_16x16x32_i8 v[120:123], a[158:159], a[22:23], v[120:123]// 0000000045D0: D3D70078 1DE22D9E
	buffer_load_dword v67, s[20:23], 0 offen lds               // 0000000045D8: E0511000 80050043
	s_add_u32 m0, 0x600, s49                                   // 0000000045E0: 807C31FF 00000600
	v_mfma_i32_16x16x32_i8 v[92:95], a[144:145], a[24:25], v[92:95]// 0000000045E8: D3D7005C 1D723190
	v_mfma_i32_16x16x32_i8 v[92:95], a[146:147], a[26:27], v[92:95]// 0000000045F0: D3D7005C 1D723592
	buffer_load_dword v68, s[20:23], 0 offen lds               // 0000000045F8: E0511000 80050044
	s_add_u32 m0, 0x700, s49                                   // 000000004600: 807C31FF 00000700
	v_mfma_i32_16x16x32_i8 v[92:95], a[148:149], a[28:29], v[92:95]// 000000004608: D3D7005C 1D723994
	v_mfma_i32_16x16x32_i8 v[92:95], a[150:151], a[30:31], v[92:95]// 000000004610: D3D7005C 1D723D96
	buffer_load_dword v69, s[20:23], 0 offen lds               // 000000004618: E0511000 80050045
	s_add_u32 m0, 0x800, s49                                   // 000000004620: 807C31FF 00000800
	v_mfma_i32_16x16x32_i8 v[124:127], a[152:153], a[24:25], v[124:127]// 000000004628: D3D7007C 1DF23198
	v_mfma_i32_16x16x32_i8 v[124:127], a[154:155], a[26:27], v[124:127]// 000000004630: D3D7007C 1DF2359A
	buffer_load_dword v70, s[20:23], 0 offen lds               // 000000004638: E0511000 80050046
	s_add_u32 m0, 0x900, s49                                   // 000000004640: 807C31FF 00000900
	v_mfma_i32_16x16x32_i8 v[124:127], a[156:157], a[28:29], v[124:127]// 000000004648: D3D7007C 1DF2399C
	v_mfma_i32_16x16x32_i8 v[124:127], a[158:159], a[30:31], v[124:127]// 000000004650: D3D7007C 1DF23D9E
	buffer_load_dword v71, s[20:23], 0 offen lds               // 000000004658: E0511000 80050047
	s_add_u32 m0, 0xa00, s49                                   // 000000004660: 807C31FF 00000A00
	v_mfma_i32_16x16x32_i8 v[96:99], a[144:145], a[32:33], v[96:99]// 000000004668: D3D70060 1D824190
	v_mfma_i32_16x16x32_i8 v[96:99], a[146:147], a[34:35], v[96:99]// 000000004670: D3D70060 1D824592
	v_mfma_i32_16x16x32_i8 v[96:99], a[148:149], a[36:37], v[96:99]// 000000004678: D3D70060 1D824994
	v_mfma_i32_16x16x32_i8 v[96:99], a[150:151], a[38:39], v[96:99]// 000000004680: D3D70060 1D824D96
	v_mfma_i32_16x16x32_i8 v[128:131], a[152:153], a[32:33], v[128:131]// 000000004688: D3D70080 1E024198
	v_mfma_i32_16x16x32_i8 v[128:131], a[154:155], a[34:35], v[128:131]// 000000004690: D3D70080 1E02459A
	v_mfma_i32_16x16x32_i8 v[128:131], a[156:157], a[36:37], v[128:131]// 000000004698: D3D70080 1E02499C
	v_mfma_i32_16x16x32_i8 v[128:131], a[158:159], a[38:39], v[128:131]// 0000000046A0: D3D70080 1E024D9E
	v_mfma_i32_16x16x32_i8 v[100:103], a[144:145], a[40:41], v[100:103]// 0000000046A8: D3D70064 1D925190
	v_mfma_i32_16x16x32_i8 v[100:103], a[146:147], a[42:43], v[100:103]// 0000000046B0: D3D70064 1D925592
	buffer_load_dword v72, s[20:23], 0 offen lds               // 0000000046B8: E0511000 80050048
	s_add_u32 m0, 0xb00, s49                                   // 0000000046C0: 807C31FF 00000B00
	v_mfma_i32_16x16x32_i8 v[100:103], a[148:149], a[44:45], v[100:103]// 0000000046C8: D3D70064 1D925994
	v_mfma_i32_16x16x32_i8 v[100:103], a[150:151], a[46:47], v[100:103]// 0000000046D0: D3D70064 1D925D96
	buffer_load_dword v73, s[20:23], 0 offen lds               // 0000000046D8: E0511000 80050049
	s_add_u32 m0, 0xc00, s49                                   // 0000000046E0: 807C31FF 00000C00
	v_mfma_i32_16x16x32_i8 v[132:135], a[152:153], a[40:41], v[132:135]// 0000000046E8: D3D70084 1E125198
	v_mfma_i32_16x16x32_i8 v[132:135], a[154:155], a[42:43], v[132:135]// 0000000046F0: D3D70084 1E12559A
	buffer_load_dword v74, s[20:23], 0 offen lds               // 0000000046F8: E0511000 8005004A
	s_add_u32 m0, 0xd00, s49                                   // 000000004700: 807C31FF 00000D00
	v_mfma_i32_16x16x32_i8 v[132:135], a[156:157], a[44:45], v[132:135]// 000000004708: D3D70084 1E12599C
	v_mfma_i32_16x16x32_i8 v[132:135], a[158:159], a[46:47], v[132:135]// 000000004710: D3D70084 1E125D9E
	buffer_load_dword v75, s[20:23], 0 offen lds               // 000000004718: E0511000 8005004B
	s_add_u32 m0, 0xe00, s49                                   // 000000004720: 807C31FF 00000E00
	v_mfma_i32_16x16x32_i8 v[104:107], a[144:145], a[48:49], v[104:107]// 000000004728: D3D70068 1DA26190
	v_mfma_i32_16x16x32_i8 v[104:107], a[146:147], a[50:51], v[104:107]// 000000004730: D3D70068 1DA26592
	v_mfma_i32_16x16x32_i8 v[104:107], a[148:149], a[52:53], v[104:107]// 000000004738: D3D70068 1DA26994
	v_mfma_i32_16x16x32_i8 v[104:107], a[150:151], a[54:55], v[104:107]// 000000004740: D3D70068 1DA26D96
	v_mfma_i32_16x16x32_i8 v[136:139], a[152:153], a[48:49], v[136:139]// 000000004748: D3D70088 1E226198
	v_mfma_i32_16x16x32_i8 v[136:139], a[154:155], a[50:51], v[136:139]// 000000004750: D3D70088 1E22659A
	v_mfma_i32_16x16x32_i8 v[136:139], a[156:157], a[52:53], v[136:139]// 000000004758: D3D70088 1E22699C
	v_mfma_i32_16x16x32_i8 v[136:139], a[158:159], a[54:55], v[136:139]// 000000004760: D3D70088 1E226D9E
	v_mfma_i32_16x16x32_i8 v[108:111], a[144:145], a[56:57], v[108:111]// 000000004768: D3D7006C 1DB27190
	v_mfma_i32_16x16x32_i8 v[108:111], a[146:147], a[58:59], v[108:111]// 000000004770: D3D7006C 1DB27592
	buffer_load_dword v76, s[20:23], 0 offen lds               // 000000004778: E0511000 8005004C
	s_add_u32 m0, 0xf00, s49                                   // 000000004780: 807C31FF 00000F00
	v_mfma_i32_16x16x32_i8 v[108:111], a[148:149], a[60:61], v[108:111]// 000000004788: D3D7006C 1DB27994
	v_mfma_i32_16x16x32_i8 v[108:111], a[150:151], a[62:63], v[108:111]// 000000004790: D3D7006C 1DB27D96
	buffer_load_dword v77, s[20:23], 0 offen lds               // 000000004798: E0511000 8005004D
	s_add_u32 m0, 0, s50                                       // 0000000047A0: 807C3280
	v_mfma_i32_16x16x32_i8 v[140:143], a[152:153], a[56:57], v[140:143]// 0000000047A4: D3D7008C 1E327198
	v_mfma_i32_16x16x32_i8 v[140:143], a[154:155], a[58:59], v[140:143]// 0000000047AC: D3D7008C 1E32759A
	v_mfma_i32_16x16x32_i8 v[140:143], a[156:157], a[60:61], v[140:143]// 0000000047B4: D3D7008C 1E32799C
	v_mfma_i32_16x16x32_i8 v[140:143], a[158:159], a[62:63], v[140:143]// 0000000047BC: D3D7008C 1E327D9E
	s_waitcnt vmcnt(20)                                        // 0000000047C4: BF8C4F74
	s_barrier                                                  // 0000000047C8: BF8A0000
	v_mfma_i32_16x16x32_i8 v[144:147], a[160:161], a[0:1], v[144:147]// 0000000047CC: D3D70090 1E4201A0
	v_mfma_i32_16x16x32_i8 v[144:147], a[162:163], a[2:3], v[144:147]// 0000000047D4: D3D70090 1E4205A2
	buffer_load_dwordx4 a[144:147], v78, s[84:87], 0 offen     // 0000000047DC: E05C1000 8095904E
	v_mfma_i32_16x16x32_i8 v[144:147], a[164:165], a[4:5], v[144:147]// 0000000047E4: D3D70090 1E4209A4
	v_mfma_i32_16x16x32_i8 v[144:147], a[166:167], a[6:7], v[144:147]// 0000000047EC: D3D70090 1E420DA6
	ds_read_b128 a[64:67], v2                                  // 0000000047F4: DBFE0000 40000002
	ds_read_b128 a[68:71], v2 offset:64                        // 0000000047FC: DBFE0040 44000002
	v_mfma_i32_16x16x32_i8 v[176:179], a[168:169], a[0:1], v[176:179]// 000000004804: D3D700B0 1EC201A8
	v_mfma_i32_16x16x32_i8 v[176:179], a[170:171], a[2:3], v[176:179]// 00000000480C: D3D700B0 1EC205AA
	buffer_load_dwordx4 a[148:151], v78, s[84:87], 0 offen offset:1024// 000000004814: E05C1400 8095944E
	v_mfma_i32_16x16x32_i8 v[176:179], a[172:173], a[4:5], v[176:179]// 00000000481C: D3D700B0 1EC209AC
	v_mfma_i32_16x16x32_i8 v[176:179], a[174:175], a[6:7], v[176:179]// 000000004824: D3D700B0 1EC20DAE
	ds_read_b128 a[72:75], v2 offset:512                       // 00000000482C: DBFE0200 48000002
	ds_read_b128 a[76:79], v2 offset:576                       // 000000004834: DBFE0240 4C000002
	v_mfma_i32_16x16x32_i8 v[148:151], a[160:161], a[8:9], v[148:151]// 00000000483C: D3D70094 1E5211A0
	v_mfma_i32_16x16x32_i8 v[148:151], a[162:163], a[10:11], v[148:151]// 000000004844: D3D70094 1E5215A2
	buffer_load_dwordx4 a[152:155], v79, s[84:87], 0 offen     // 00000000484C: E05C1000 8095984F
	v_mfma_i32_16x16x32_i8 v[148:151], a[164:165], a[12:13], v[148:151]// 000000004854: D3D70094 1E5219A4
	v_mfma_i32_16x16x32_i8 v[148:151], a[166:167], a[14:15], v[148:151]// 00000000485C: D3D70094 1E521DA6
	ds_read_b128 a[80:83], v2 offset:1024                      // 000000004864: DBFE0400 50000002
	ds_read_b128 a[84:87], v2 offset:1088                      // 00000000486C: DBFE0440 54000002
	v_mfma_i32_16x16x32_i8 v[180:183], a[168:169], a[8:9], v[180:183]// 000000004874: D3D700B4 1ED211A8
	v_mfma_i32_16x16x32_i8 v[180:183], a[170:171], a[10:11], v[180:183]// 00000000487C: D3D700B4 1ED215AA
	buffer_load_dwordx4 a[156:159], v79, s[84:87], 0 offen offset:1024// 000000004884: E05C1400 80959C4F
	v_mfma_i32_16x16x32_i8 v[180:183], a[172:173], a[12:13], v[180:183]// 00000000488C: D3D700B4 1ED219AC
	v_mfma_i32_16x16x32_i8 v[180:183], a[174:175], a[14:15], v[180:183]// 000000004894: D3D700B4 1ED21DAE
	ds_read_b128 a[88:91], v2 offset:1536                      // 00000000489C: DBFE0600 58000002
	ds_read_b128 a[92:95], v2 offset:1600                      // 0000000048A4: DBFE0640 5C000002
	v_mfma_i32_16x16x32_i8 v[152:155], a[160:161], a[16:17], v[152:155]// 0000000048AC: D3D70098 1E6221A0
	v_mfma_i32_16x16x32_i8 v[152:155], a[162:163], a[18:19], v[152:155]// 0000000048B4: D3D70098 1E6225A2
	v_mfma_i32_16x16x32_i8 v[152:155], a[164:165], a[20:21], v[152:155]// 0000000048BC: D3D70098 1E6229A4
	v_mfma_i32_16x16x32_i8 v[152:155], a[166:167], a[22:23], v[152:155]// 0000000048C4: D3D70098 1E622DA6
	ds_read_b128 a[96:99], v2 offset:2048                      // 0000000048CC: DBFE0800 60000002
	ds_read_b128 a[100:103], v2 offset:2112                    // 0000000048D4: DBFE0840 64000002
	v_mfma_i32_16x16x32_i8 v[184:187], a[168:169], a[16:17], v[184:187]// 0000000048DC: D3D700B8 1EE221A8
	v_mfma_i32_16x16x32_i8 v[184:187], a[170:171], a[18:19], v[184:187]// 0000000048E4: D3D700B8 1EE225AA
	v_mfma_i32_16x16x32_i8 v[184:187], a[172:173], a[20:21], v[184:187]// 0000000048EC: D3D700B8 1EE229AC
	v_mfma_i32_16x16x32_i8 v[184:187], a[174:175], a[22:23], v[184:187]// 0000000048F4: D3D700B8 1EE22DAE
	ds_read_b128 a[104:107], v2 offset:2560                    // 0000000048FC: DBFE0A00 68000002
	ds_read_b128 a[108:111], v2 offset:2624                    // 000000004904: DBFE0A40 6C000002
	v_mfma_i32_16x16x32_i8 v[156:159], a[160:161], a[24:25], v[156:159]// 00000000490C: D3D7009C 1E7231A0
	v_mfma_i32_16x16x32_i8 v[156:159], a[162:163], a[26:27], v[156:159]// 000000004914: D3D7009C 1E7235A2
	v_mfma_i32_16x16x32_i8 v[156:159], a[164:165], a[28:29], v[156:159]// 00000000491C: D3D7009C 1E7239A4
	v_mfma_i32_16x16x32_i8 v[156:159], a[166:167], a[30:31], v[156:159]// 000000004924: D3D7009C 1E723DA6
	ds_read_b128 a[112:115], v2 offset:3072                    // 00000000492C: DBFE0C00 70000002
	ds_read_b128 a[116:119], v2 offset:3136                    // 000000004934: DBFE0C40 74000002
	v_mfma_i32_16x16x32_i8 v[188:191], a[168:169], a[24:25], v[188:191]// 00000000493C: D3D700BC 1EF231A8
	v_mfma_i32_16x16x32_i8 v[188:191], a[170:171], a[26:27], v[188:191]// 000000004944: D3D700BC 1EF235AA
	v_mfma_i32_16x16x32_i8 v[188:191], a[172:173], a[28:29], v[188:191]// 00000000494C: D3D700BC 1EF239AC
	v_mfma_i32_16x16x32_i8 v[188:191], a[174:175], a[30:31], v[188:191]// 000000004954: D3D700BC 1EF23DAE
	ds_read_b128 a[120:123], v2 offset:3584                    // 00000000495C: DBFE0E00 78000002
	ds_read_b128 a[124:127], v2 offset:3648                    // 000000004964: DBFE0E40 7C000002
	v_mfma_i32_16x16x32_i8 v[160:163], a[160:161], a[32:33], v[160:163]// 00000000496C: D3D700A0 1E8241A0
	v_mfma_i32_16x16x32_i8 v[160:163], a[162:163], a[34:35], v[160:163]// 000000004974: D3D700A0 1E8245A2
	v_mfma_i32_16x16x32_i8 v[160:163], a[164:165], a[36:37], v[160:163]// 00000000497C: D3D700A0 1E8249A4
	v_mfma_i32_16x16x32_i8 v[160:163], a[166:167], a[38:39], v[160:163]// 000000004984: D3D700A0 1E824DA6
	v_mfma_i32_16x16x32_i8 v[192:195], a[168:169], a[32:33], v[192:195]// 00000000498C: D3D700C0 1F0241A8
	v_mfma_i32_16x16x32_i8 v[192:195], a[170:171], a[34:35], v[192:195]// 000000004994: D3D700C0 1F0245AA
	v_mfma_i32_16x16x32_i8 v[192:195], a[172:173], a[36:37], v[192:195]// 00000000499C: D3D700C0 1F0249AC
	v_mfma_i32_16x16x32_i8 v[192:195], a[174:175], a[38:39], v[192:195]// 0000000049A4: D3D700C0 1F024DAE
	v_mfma_i32_16x16x32_i8 v[164:167], a[160:161], a[40:41], v[164:167]// 0000000049AC: D3D700A4 1E9251A0
	v_mfma_i32_16x16x32_i8 v[164:167], a[162:163], a[42:43], v[164:167]// 0000000049B4: D3D700A4 1E9255A2
	v_mfma_i32_16x16x32_i8 v[164:167], a[164:165], a[44:45], v[164:167]// 0000000049BC: D3D700A4 1E9259A4
	v_mfma_i32_16x16x32_i8 v[164:167], a[166:167], a[46:47], v[164:167]// 0000000049C4: D3D700A4 1E925DA6
	v_mfma_i32_16x16x32_i8 v[196:199], a[168:169], a[40:41], v[196:199]// 0000000049CC: D3D700C4 1F1251A8
	v_mfma_i32_16x16x32_i8 v[196:199], a[170:171], a[42:43], v[196:199]// 0000000049D4: D3D700C4 1F1255AA
	v_mfma_i32_16x16x32_i8 v[196:199], a[172:173], a[44:45], v[196:199]// 0000000049DC: D3D700C4 1F1259AC
	v_mfma_i32_16x16x32_i8 v[196:199], a[174:175], a[46:47], v[196:199]// 0000000049E4: D3D700C4 1F125DAE
	v_mfma_i32_16x16x32_i8 v[168:171], a[160:161], a[48:49], v[168:171]// 0000000049EC: D3D700A8 1EA261A0
	v_mfma_i32_16x16x32_i8 v[168:171], a[162:163], a[50:51], v[168:171]// 0000000049F4: D3D700A8 1EA265A2
	v_mfma_i32_16x16x32_i8 v[168:171], a[164:165], a[52:53], v[168:171]// 0000000049FC: D3D700A8 1EA269A4
	v_mfma_i32_16x16x32_i8 v[168:171], a[166:167], a[54:55], v[168:171]// 000000004A04: D3D700A8 1EA26DA6
	v_mfma_i32_16x16x32_i8 v[200:203], a[168:169], a[48:49], v[200:203]// 000000004A0C: D3D700C8 1F2261A8
	v_mfma_i32_16x16x32_i8 v[200:203], a[170:171], a[50:51], v[200:203]// 000000004A14: D3D700C8 1F2265AA
	v_mfma_i32_16x16x32_i8 v[200:203], a[172:173], a[52:53], v[200:203]// 000000004A1C: D3D700C8 1F2269AC
	v_mfma_i32_16x16x32_i8 v[200:203], a[174:175], a[54:55], v[200:203]// 000000004A24: D3D700C8 1F226DAE
	v_mfma_i32_16x16x32_i8 v[172:175], a[160:161], a[56:57], v[172:175]// 000000004A2C: D3D700AC 1EB271A0
	s_add_u32 s60, 0x180, s80                                  // 000000004A34: 803C50FF 00000180
	s_cmp_lt_u32 s60, s81                                      // 000000004A3C: BF0A513C
	s_cselect_b32 s57, s57, 0                                  // 000000004A40: 85398039
	v_mfma_i32_16x16x32_i8 v[172:175], a[162:163], a[58:59], v[172:175]// 000000004A44: D3D700AC 1EB275A2
	s_add_u32 s60, 0x100, s80                                  // 000000004A4C: 803C50FF 00000100
	s_cmp_lt_u32 s60, s81                                      // 000000004A54: BF0A513C
	s_cselect_b32 s58, s58, 0                                  // 000000004A58: 853A803A
	v_mfma_i32_16x16x32_i8 v[172:175], a[164:165], a[60:61], v[172:175]// 000000004A5C: D3D700AC 1EB279A4
	s_add_u32 s60, 0x100, s80                                  // 000000004A64: 803C50FF 00000100
	s_cmp_lt_u32 s60, s81                                      // 000000004A6C: BF0A513C
	s_cselect_b32 s83, s83, 0                                  // 000000004A70: 85538053
	v_mfma_i32_16x16x32_i8 v[172:175], a[166:167], a[62:63], v[172:175]// 000000004A74: D3D700AC 1EB27DA6
	s_add_u32 s24, s58, s24                                    // 000000004A7C: 8018183A
	s_addc_u32 s25, 0, s25                                     // 000000004A80: 82191980
	v_mfma_i32_16x16x32_i8 v[204:207], a[168:169], a[56:57], v[204:207]// 000000004A84: D3D700CC 1F3271A8
	s_add_u32 s20, s57, s20                                    // 000000004A8C: 80141439
	s_addc_u32 s21, 0, s21                                     // 000000004A90: 82151580
	v_mfma_i32_16x16x32_i8 v[204:207], a[170:171], a[58:59], v[204:207]// 000000004A94: D3D700CC 1F3275AA
	s_add_u32 s84, s83, s84                                    // 000000004A9C: 80545453
	s_addc_u32 s85, 0, s85                                     // 000000004AA0: 82555580
	v_mfma_i32_16x16x32_i8 v[204:207], a[172:173], a[60:61], v[204:207]// 000000004AA4: D3D700CC 1F3279AC
	v_mfma_i32_16x16x32_i8 v[204:207], a[174:175], a[62:63], v[204:207]// 000000004AAC: D3D700CC 1F327DAE
	s_addk_i32 s80, 0x80                                       // 000000004AB4: B7500080
	s_cmp_lt_i32 s80, s81                                      // 000000004AB8: BF045150
	s_cbranch_scc0 label_0CC6                                  // 000000004ABC: BF840496
	s_waitcnt vmcnt(20) lgkmcnt(0)                             // 000000004AC0: BF8C4074
	v_mfma_i32_16x16x32_i8 v[80:83], a[128:129], a[64:65], v[80:83]// 000000004AC4: D3D70050 1D428180
	v_mfma_i32_16x16x32_i8 v[80:83], a[130:131], a[66:67], v[80:83]// 000000004ACC: D3D70050 1D428582
	buffer_load_dwordx4 a[160:163], v78, s[24:27], 0 offen     // 000000004AD4: E05C1000 8086A04E
	v_mfma_i32_16x16x32_i8 v[80:83], a[132:133], a[68:69], v[80:83]// 000000004ADC: D3D70050 1D428984
	v_mfma_i32_16x16x32_i8 v[80:83], a[134:135], a[70:71], v[80:83]// 000000004AE4: D3D70050 1D428D86
	v_mfma_i32_16x16x32_i8 v[112:115], a[136:137], a[64:65], v[112:115]// 000000004AEC: D3D70070 1DC28188
	v_mfma_i32_16x16x32_i8 v[112:115], a[138:139], a[66:67], v[112:115]// 000000004AF4: D3D70070 1DC2858A
	buffer_load_dwordx4 a[164:167], v78, s[24:27], 0 offen offset:1024// 000000004AFC: E05C1400 8086A44E
	v_mfma_i32_16x16x32_i8 v[112:115], a[140:141], a[68:69], v[112:115]// 000000004B04: D3D70070 1DC2898C
	v_mfma_i32_16x16x32_i8 v[112:115], a[142:143], a[70:71], v[112:115]// 000000004B0C: D3D70070 1DC28D8E
	v_mfma_i32_16x16x32_i8 v[84:87], a[128:129], a[72:73], v[84:87]// 000000004B14: D3D70054 1D529180
	v_mfma_i32_16x16x32_i8 v[84:87], a[130:131], a[74:75], v[84:87]// 000000004B1C: D3D70054 1D529582
	buffer_load_dwordx4 a[168:171], v79, s[24:27], 0 offen     // 000000004B24: E05C1000 8086A84F
	v_mfma_i32_16x16x32_i8 v[84:87], a[132:133], a[76:77], v[84:87]// 000000004B2C: D3D70054 1D529984
	v_mfma_i32_16x16x32_i8 v[84:87], a[134:135], a[78:79], v[84:87]// 000000004B34: D3D70054 1D529D86
	v_mfma_i32_16x16x32_i8 v[116:119], a[136:137], a[72:73], v[116:119]// 000000004B3C: D3D70074 1DD29188
	v_mfma_i32_16x16x32_i8 v[116:119], a[138:139], a[74:75], v[116:119]// 000000004B44: D3D70074 1DD2958A
	buffer_load_dwordx4 a[172:175], v79, s[24:27], 0 offen offset:1024// 000000004B4C: E05C1400 8086AC4F
	buffer_load_dword v62, s[20:23], 0 offen lds               // 000000004B54: E0511000 8005003E
	s_add_u32 m0, 0x100, s50                                   // 000000004B5C: 807C32FF 00000100
	v_mfma_i32_16x16x32_i8 v[116:119], a[140:141], a[76:77], v[116:119]// 000000004B64: D3D70074 1DD2998C
	v_mfma_i32_16x16x32_i8 v[116:119], a[142:143], a[78:79], v[116:119]// 000000004B6C: D3D70074 1DD29D8E
	buffer_load_dword v63, s[20:23], 0 offen lds               // 000000004B74: E0511000 8005003F
	s_add_u32 m0, 0x200, s50                                   // 000000004B7C: 807C32FF 00000200
	v_mfma_i32_16x16x32_i8 v[88:91], a[128:129], a[80:81], v[88:91]// 000000004B84: D3D70058 1D62A180
	v_mfma_i32_16x16x32_i8 v[88:91], a[130:131], a[82:83], v[88:91]// 000000004B8C: D3D70058 1D62A582
	buffer_load_dword v64, s[20:23], 0 offen lds               // 000000004B94: E0511000 80050040
	s_add_u32 m0, 0x300, s50                                   // 000000004B9C: 807C32FF 00000300
	v_mfma_i32_16x16x32_i8 v[88:91], a[132:133], a[84:85], v[88:91]// 000000004BA4: D3D70058 1D62A984
	v_mfma_i32_16x16x32_i8 v[88:91], a[134:135], a[86:87], v[88:91]// 000000004BAC: D3D70058 1D62AD86
	buffer_load_dword v65, s[20:23], 0 offen lds               // 000000004BB4: E0511000 80050041
	s_add_u32 m0, 0x400, s50                                   // 000000004BBC: 807C32FF 00000400
	v_mfma_i32_16x16x32_i8 v[120:123], a[136:137], a[80:81], v[120:123]// 000000004BC4: D3D70078 1DE2A188
	v_mfma_i32_16x16x32_i8 v[120:123], a[138:139], a[82:83], v[120:123]// 000000004BCC: D3D70078 1DE2A58A
	buffer_load_dword v66, s[20:23], 0 offen lds               // 000000004BD4: E0511000 80050042
	s_add_u32 m0, 0x500, s50                                   // 000000004BDC: 807C32FF 00000500
	v_mfma_i32_16x16x32_i8 v[120:123], a[140:141], a[84:85], v[120:123]// 000000004BE4: D3D70078 1DE2A98C
	v_mfma_i32_16x16x32_i8 v[120:123], a[142:143], a[86:87], v[120:123]// 000000004BEC: D3D70078 1DE2AD8E
	buffer_load_dword v67, s[20:23], 0 offen lds               // 000000004BF4: E0511000 80050043
	s_add_u32 m0, 0x600, s50                                   // 000000004BFC: 807C32FF 00000600
	v_mfma_i32_16x16x32_i8 v[92:95], a[128:129], a[88:89], v[92:95]// 000000004C04: D3D7005C 1D72B180
	v_mfma_i32_16x16x32_i8 v[92:95], a[130:131], a[90:91], v[92:95]// 000000004C0C: D3D7005C 1D72B582
	buffer_load_dword v68, s[20:23], 0 offen lds               // 000000004C14: E0511000 80050044
	s_add_u32 m0, 0x700, s50                                   // 000000004C1C: 807C32FF 00000700
	v_mfma_i32_16x16x32_i8 v[92:95], a[132:133], a[92:93], v[92:95]// 000000004C24: D3D7005C 1D72B984
	v_mfma_i32_16x16x32_i8 v[92:95], a[134:135], a[94:95], v[92:95]// 000000004C2C: D3D7005C 1D72BD86
	buffer_load_dword v69, s[20:23], 0 offen lds               // 000000004C34: E0511000 80050045
	s_add_u32 m0, 0x800, s50                                   // 000000004C3C: 807C32FF 00000800
	v_mfma_i32_16x16x32_i8 v[124:127], a[136:137], a[88:89], v[124:127]// 000000004C44: D3D7007C 1DF2B188
	v_mfma_i32_16x16x32_i8 v[124:127], a[138:139], a[90:91], v[124:127]// 000000004C4C: D3D7007C 1DF2B58A
	buffer_load_dword v70, s[20:23], 0 offen lds               // 000000004C54: E0511000 80050046
	s_add_u32 m0, 0x900, s50                                   // 000000004C5C: 807C32FF 00000900
	v_mfma_i32_16x16x32_i8 v[124:127], a[140:141], a[92:93], v[124:127]// 000000004C64: D3D7007C 1DF2B98C
	v_mfma_i32_16x16x32_i8 v[124:127], a[142:143], a[94:95], v[124:127]// 000000004C6C: D3D7007C 1DF2BD8E
	buffer_load_dword v71, s[20:23], 0 offen lds               // 000000004C74: E0511000 80050047
	s_add_u32 m0, 0xa00, s50                                   // 000000004C7C: 807C32FF 00000A00
	v_mfma_i32_16x16x32_i8 v[96:99], a[128:129], a[96:97], v[96:99]// 000000004C84: D3D70060 1D82C180
	v_mfma_i32_16x16x32_i8 v[96:99], a[130:131], a[98:99], v[96:99]// 000000004C8C: D3D70060 1D82C582
	v_mfma_i32_16x16x32_i8 v[96:99], a[132:133], a[100:101], v[96:99]// 000000004C94: D3D70060 1D82C984
	v_mfma_i32_16x16x32_i8 v[96:99], a[134:135], a[102:103], v[96:99]// 000000004C9C: D3D70060 1D82CD86
	v_mfma_i32_16x16x32_i8 v[128:131], a[136:137], a[96:97], v[128:131]// 000000004CA4: D3D70080 1E02C188
	v_mfma_i32_16x16x32_i8 v[128:131], a[138:139], a[98:99], v[128:131]// 000000004CAC: D3D70080 1E02C58A
	v_mfma_i32_16x16x32_i8 v[128:131], a[140:141], a[100:101], v[128:131]// 000000004CB4: D3D70080 1E02C98C
	v_mfma_i32_16x16x32_i8 v[128:131], a[142:143], a[102:103], v[128:131]// 000000004CBC: D3D70080 1E02CD8E
	v_mfma_i32_16x16x32_i8 v[100:103], a[128:129], a[104:105], v[100:103]// 000000004CC4: D3D70064 1D92D180
	v_mfma_i32_16x16x32_i8 v[100:103], a[130:131], a[106:107], v[100:103]// 000000004CCC: D3D70064 1D92D582
	buffer_load_dword v72, s[20:23], 0 offen lds               // 000000004CD4: E0511000 80050048
	s_add_u32 m0, 0xb00, s50                                   // 000000004CDC: 807C32FF 00000B00
	v_mfma_i32_16x16x32_i8 v[100:103], a[132:133], a[108:109], v[100:103]// 000000004CE4: D3D70064 1D92D984
	v_mfma_i32_16x16x32_i8 v[100:103], a[134:135], a[110:111], v[100:103]// 000000004CEC: D3D70064 1D92DD86
	buffer_load_dword v73, s[20:23], 0 offen lds               // 000000004CF4: E0511000 80050049
	s_add_u32 m0, 0xc00, s50                                   // 000000004CFC: 807C32FF 00000C00
	v_mfma_i32_16x16x32_i8 v[132:135], a[136:137], a[104:105], v[132:135]// 000000004D04: D3D70084 1E12D188
	v_mfma_i32_16x16x32_i8 v[132:135], a[138:139], a[106:107], v[132:135]// 000000004D0C: D3D70084 1E12D58A
	buffer_load_dword v74, s[20:23], 0 offen lds               // 000000004D14: E0511000 8005004A
	s_add_u32 m0, 0xd00, s50                                   // 000000004D1C: 807C32FF 00000D00
	v_mfma_i32_16x16x32_i8 v[132:135], a[140:141], a[108:109], v[132:135]// 000000004D24: D3D70084 1E12D98C
	v_mfma_i32_16x16x32_i8 v[132:135], a[142:143], a[110:111], v[132:135]// 000000004D2C: D3D70084 1E12DD8E
	buffer_load_dword v75, s[20:23], 0 offen lds               // 000000004D34: E0511000 8005004B
	s_add_u32 m0, 0xe00, s50                                   // 000000004D3C: 807C32FF 00000E00
	v_mfma_i32_16x16x32_i8 v[104:107], a[128:129], a[112:113], v[104:107]// 000000004D44: D3D70068 1DA2E180
	v_mfma_i32_16x16x32_i8 v[104:107], a[130:131], a[114:115], v[104:107]// 000000004D4C: D3D70068 1DA2E582
	v_mfma_i32_16x16x32_i8 v[104:107], a[132:133], a[116:117], v[104:107]// 000000004D54: D3D70068 1DA2E984
	v_mfma_i32_16x16x32_i8 v[104:107], a[134:135], a[118:119], v[104:107]// 000000004D5C: D3D70068 1DA2ED86
	v_mfma_i32_16x16x32_i8 v[136:139], a[136:137], a[112:113], v[136:139]// 000000004D64: D3D70088 1E22E188
	v_mfma_i32_16x16x32_i8 v[136:139], a[138:139], a[114:115], v[136:139]// 000000004D6C: D3D70088 1E22E58A
	v_mfma_i32_16x16x32_i8 v[136:139], a[140:141], a[116:117], v[136:139]// 000000004D74: D3D70088 1E22E98C
	v_mfma_i32_16x16x32_i8 v[136:139], a[142:143], a[118:119], v[136:139]// 000000004D7C: D3D70088 1E22ED8E
	v_mfma_i32_16x16x32_i8 v[108:111], a[128:129], a[120:121], v[108:111]// 000000004D84: D3D7006C 1DB2F180
	v_mfma_i32_16x16x32_i8 v[108:111], a[130:131], a[122:123], v[108:111]// 000000004D8C: D3D7006C 1DB2F582
	buffer_load_dword v76, s[20:23], 0 offen lds               // 000000004D94: E0511000 8005004C
	s_add_u32 m0, 0xf00, s50                                   // 000000004D9C: 807C32FF 00000F00
	v_mfma_i32_16x16x32_i8 v[108:111], a[132:133], a[124:125], v[108:111]// 000000004DA4: D3D7006C 1DB2F984
	v_mfma_i32_16x16x32_i8 v[108:111], a[134:135], a[126:127], v[108:111]// 000000004DAC: D3D7006C 1DB2FD86
	buffer_load_dword v77, s[20:23], 0 offen lds               // 000000004DB4: E0511000 8005004D
	s_add_u32 m0, 0, s48                                       // 000000004DBC: 807C3080
	v_mfma_i32_16x16x32_i8 v[140:143], a[136:137], a[120:121], v[140:143]// 000000004DC0: D3D7008C 1E32F188
	v_mfma_i32_16x16x32_i8 v[140:143], a[138:139], a[122:123], v[140:143]// 000000004DC8: D3D7008C 1E32F58A
	v_mfma_i32_16x16x32_i8 v[140:143], a[140:141], a[124:125], v[140:143]// 000000004DD0: D3D7008C 1E32F98C
	v_mfma_i32_16x16x32_i8 v[140:143], a[142:143], a[126:127], v[140:143]// 000000004DD8: D3D7008C 1E32FD8E
	s_waitcnt vmcnt(20)                                        // 000000004DE0: BF8C4F74
	s_barrier                                                  // 000000004DE4: BF8A0000
	v_mfma_i32_16x16x32_i8 v[144:147], a[144:145], a[64:65], v[144:147]// 000000004DE8: D3D70090 1E428190
	v_mfma_i32_16x16x32_i8 v[144:147], a[146:147], a[66:67], v[144:147]// 000000004DF0: D3D70090 1E428592
	buffer_load_dwordx4 a[128:131], v78, s[84:87], 0 offen     // 000000004DF8: E05C1000 8095804E
	v_mfma_i32_16x16x32_i8 v[144:147], a[148:149], a[68:69], v[144:147]// 000000004E00: D3D70090 1E428994
	v_mfma_i32_16x16x32_i8 v[144:147], a[150:151], a[70:71], v[144:147]// 000000004E08: D3D70090 1E428D96
	ds_read_b128 a[0:3], v2 offset:16512                       // 000000004E10: DBFE4080 00000002
	ds_read_b128 a[4:7], v2 offset:16576                       // 000000004E18: DBFE40C0 04000002
	v_mfma_i32_16x16x32_i8 v[176:179], a[152:153], a[64:65], v[176:179]// 000000004E20: D3D700B0 1EC28198
	v_mfma_i32_16x16x32_i8 v[176:179], a[154:155], a[66:67], v[176:179]// 000000004E28: D3D700B0 1EC2859A
	buffer_load_dwordx4 a[132:135], v78, s[84:87], 0 offen offset:1024// 000000004E30: E05C1400 8095844E
	v_mfma_i32_16x16x32_i8 v[176:179], a[156:157], a[68:69], v[176:179]// 000000004E38: D3D700B0 1EC2899C
	v_mfma_i32_16x16x32_i8 v[176:179], a[158:159], a[70:71], v[176:179]// 000000004E40: D3D700B0 1EC28D9E
	ds_read_b128 a[8:11], v2 offset:17024                      // 000000004E48: DBFE4280 08000002
	ds_read_b128 a[12:15], v2 offset:17088                     // 000000004E50: DBFE42C0 0C000002
	v_mfma_i32_16x16x32_i8 v[148:151], a[144:145], a[72:73], v[148:151]// 000000004E58: D3D70094 1E529190
	v_mfma_i32_16x16x32_i8 v[148:151], a[146:147], a[74:75], v[148:151]// 000000004E60: D3D70094 1E529592
	buffer_load_dwordx4 a[136:139], v79, s[84:87], 0 offen     // 000000004E68: E05C1000 8095884F
	v_mfma_i32_16x16x32_i8 v[148:151], a[148:149], a[76:77], v[148:151]// 000000004E70: D3D70094 1E529994
	v_mfma_i32_16x16x32_i8 v[148:151], a[150:151], a[78:79], v[148:151]// 000000004E78: D3D70094 1E529D96
	ds_read_b128 a[16:19], v2 offset:17536                     // 000000004E80: DBFE4480 10000002
	ds_read_b128 a[20:23], v2 offset:17600                     // 000000004E88: DBFE44C0 14000002
	v_mfma_i32_16x16x32_i8 v[180:183], a[152:153], a[72:73], v[180:183]// 000000004E90: D3D700B4 1ED29198
	v_mfma_i32_16x16x32_i8 v[180:183], a[154:155], a[74:75], v[180:183]// 000000004E98: D3D700B4 1ED2959A
	buffer_load_dwordx4 a[140:143], v79, s[84:87], 0 offen offset:1024// 000000004EA0: E05C1400 80958C4F
	v_mfma_i32_16x16x32_i8 v[180:183], a[156:157], a[76:77], v[180:183]// 000000004EA8: D3D700B4 1ED2999C
	v_mfma_i32_16x16x32_i8 v[180:183], a[158:159], a[78:79], v[180:183]// 000000004EB0: D3D700B4 1ED29D9E
	ds_read_b128 a[24:27], v2 offset:18048                     // 000000004EB8: DBFE4680 18000002
	ds_read_b128 a[28:31], v2 offset:18112                     // 000000004EC0: DBFE46C0 1C000002
	v_mfma_i32_16x16x32_i8 v[152:155], a[144:145], a[80:81], v[152:155]// 000000004EC8: D3D70098 1E62A190
	v_mfma_i32_16x16x32_i8 v[152:155], a[146:147], a[82:83], v[152:155]// 000000004ED0: D3D70098 1E62A592
	v_mfma_i32_16x16x32_i8 v[152:155], a[148:149], a[84:85], v[152:155]// 000000004ED8: D3D70098 1E62A994
	v_mfma_i32_16x16x32_i8 v[152:155], a[150:151], a[86:87], v[152:155]// 000000004EE0: D3D70098 1E62AD96
	ds_read_b128 a[32:35], v2 offset:18560                     // 000000004EE8: DBFE4880 20000002
	ds_read_b128 a[36:39], v2 offset:18624                     // 000000004EF0: DBFE48C0 24000002
	v_mfma_i32_16x16x32_i8 v[184:187], a[152:153], a[80:81], v[184:187]// 000000004EF8: D3D700B8 1EE2A198
	v_mfma_i32_16x16x32_i8 v[184:187], a[154:155], a[82:83], v[184:187]// 000000004F00: D3D700B8 1EE2A59A
	v_mfma_i32_16x16x32_i8 v[184:187], a[156:157], a[84:85], v[184:187]// 000000004F08: D3D700B8 1EE2A99C
	v_mfma_i32_16x16x32_i8 v[184:187], a[158:159], a[86:87], v[184:187]// 000000004F10: D3D700B8 1EE2AD9E
	ds_read_b128 a[40:43], v2 offset:19072                     // 000000004F18: DBFE4A80 28000002
	ds_read_b128 a[44:47], v2 offset:19136                     // 000000004F20: DBFE4AC0 2C000002
	v_mfma_i32_16x16x32_i8 v[156:159], a[144:145], a[88:89], v[156:159]// 000000004F28: D3D7009C 1E72B190
	v_mfma_i32_16x16x32_i8 v[156:159], a[146:147], a[90:91], v[156:159]// 000000004F30: D3D7009C 1E72B592
	v_mfma_i32_16x16x32_i8 v[156:159], a[148:149], a[92:93], v[156:159]// 000000004F38: D3D7009C 1E72B994
	v_mfma_i32_16x16x32_i8 v[156:159], a[150:151], a[94:95], v[156:159]// 000000004F40: D3D7009C 1E72BD96
	ds_read_b128 a[48:51], v2 offset:19584                     // 000000004F48: DBFE4C80 30000002
	ds_read_b128 a[52:55], v2 offset:19648                     // 000000004F50: DBFE4CC0 34000002
	v_mfma_i32_16x16x32_i8 v[188:191], a[152:153], a[88:89], v[188:191]// 000000004F58: D3D700BC 1EF2B198
	v_mfma_i32_16x16x32_i8 v[188:191], a[154:155], a[90:91], v[188:191]// 000000004F60: D3D700BC 1EF2B59A
	v_mfma_i32_16x16x32_i8 v[188:191], a[156:157], a[92:93], v[188:191]// 000000004F68: D3D700BC 1EF2B99C
	v_mfma_i32_16x16x32_i8 v[188:191], a[158:159], a[94:95], v[188:191]// 000000004F70: D3D700BC 1EF2BD9E
	ds_read_b128 a[56:59], v2 offset:20096                     // 000000004F78: DBFE4E80 38000002
	ds_read_b128 a[60:63], v2 offset:20160                     // 000000004F80: DBFE4EC0 3C000002
	v_mfma_i32_16x16x32_i8 v[160:163], a[144:145], a[96:97], v[160:163]// 000000004F88: D3D700A0 1E82C190
	v_mfma_i32_16x16x32_i8 v[160:163], a[146:147], a[98:99], v[160:163]// 000000004F90: D3D700A0 1E82C592
	v_mfma_i32_16x16x32_i8 v[160:163], a[148:149], a[100:101], v[160:163]// 000000004F98: D3D700A0 1E82C994
	v_mfma_i32_16x16x32_i8 v[160:163], a[150:151], a[102:103], v[160:163]// 000000004FA0: D3D700A0 1E82CD96
	v_mfma_i32_16x16x32_i8 v[192:195], a[152:153], a[96:97], v[192:195]// 000000004FA8: D3D700C0 1F02C198
	v_mfma_i32_16x16x32_i8 v[192:195], a[154:155], a[98:99], v[192:195]// 000000004FB0: D3D700C0 1F02C59A
	v_mfma_i32_16x16x32_i8 v[192:195], a[156:157], a[100:101], v[192:195]// 000000004FB8: D3D700C0 1F02C99C
	v_mfma_i32_16x16x32_i8 v[192:195], a[158:159], a[102:103], v[192:195]// 000000004FC0: D3D700C0 1F02CD9E
	v_mfma_i32_16x16x32_i8 v[164:167], a[144:145], a[104:105], v[164:167]// 000000004FC8: D3D700A4 1E92D190
	v_mfma_i32_16x16x32_i8 v[164:167], a[146:147], a[106:107], v[164:167]// 000000004FD0: D3D700A4 1E92D592
	v_mfma_i32_16x16x32_i8 v[164:167], a[148:149], a[108:109], v[164:167]// 000000004FD8: D3D700A4 1E92D994
	v_mfma_i32_16x16x32_i8 v[164:167], a[150:151], a[110:111], v[164:167]// 000000004FE0: D3D700A4 1E92DD96
	v_mfma_i32_16x16x32_i8 v[196:199], a[152:153], a[104:105], v[196:199]// 000000004FE8: D3D700C4 1F12D198
	v_mfma_i32_16x16x32_i8 v[196:199], a[154:155], a[106:107], v[196:199]// 000000004FF0: D3D700C4 1F12D59A
	v_mfma_i32_16x16x32_i8 v[196:199], a[156:157], a[108:109], v[196:199]// 000000004FF8: D3D700C4 1F12D99C
	v_mfma_i32_16x16x32_i8 v[196:199], a[158:159], a[110:111], v[196:199]// 000000005000: D3D700C4 1F12DD9E
	v_mfma_i32_16x16x32_i8 v[168:171], a[144:145], a[112:113], v[168:171]// 000000005008: D3D700A8 1EA2E190
	v_mfma_i32_16x16x32_i8 v[168:171], a[146:147], a[114:115], v[168:171]// 000000005010: D3D700A8 1EA2E592
	v_mfma_i32_16x16x32_i8 v[168:171], a[148:149], a[116:117], v[168:171]// 000000005018: D3D700A8 1EA2E994
	v_mfma_i32_16x16x32_i8 v[168:171], a[150:151], a[118:119], v[168:171]// 000000005020: D3D700A8 1EA2ED96
	v_mfma_i32_16x16x32_i8 v[200:203], a[152:153], a[112:113], v[200:203]// 000000005028: D3D700C8 1F22E198
	v_mfma_i32_16x16x32_i8 v[200:203], a[154:155], a[114:115], v[200:203]// 000000005030: D3D700C8 1F22E59A
	v_mfma_i32_16x16x32_i8 v[200:203], a[156:157], a[116:117], v[200:203]// 000000005038: D3D700C8 1F22E99C
	v_mfma_i32_16x16x32_i8 v[200:203], a[158:159], a[118:119], v[200:203]// 000000005040: D3D700C8 1F22ED9E
	v_mfma_i32_16x16x32_i8 v[172:175], a[144:145], a[120:121], v[172:175]// 000000005048: D3D700AC 1EB2F190
	s_add_u32 s60, 0x180, s80                                  // 000000005050: 803C50FF 00000180
	s_cmp_lt_u32 s60, s81                                      // 000000005058: BF0A513C
	s_cselect_b32 s57, s57, 0                                  // 00000000505C: 85398039
	v_mfma_i32_16x16x32_i8 v[172:175], a[146:147], a[122:123], v[172:175]// 000000005060: D3D700AC 1EB2F592
	s_add_u32 s60, 0x100, s80                                  // 000000005068: 803C50FF 00000100
	s_cmp_lt_u32 s60, s81                                      // 000000005070: BF0A513C
	s_cselect_b32 s58, s58, 0                                  // 000000005074: 853A803A
	v_mfma_i32_16x16x32_i8 v[172:175], a[148:149], a[124:125], v[172:175]// 000000005078: D3D700AC 1EB2F994
	s_add_u32 s60, 0x100, s80                                  // 000000005080: 803C50FF 00000100
	s_cmp_lt_u32 s60, s81                                      // 000000005088: BF0A513C
	s_cselect_b32 s83, s83, 0                                  // 00000000508C: 85538053
	v_mfma_i32_16x16x32_i8 v[172:175], a[150:151], a[126:127], v[172:175]// 000000005090: D3D700AC 1EB2FD96
	s_add_u32 s24, s58, s24                                    // 000000005098: 8018183A
	s_addc_u32 s25, 0, s25                                     // 00000000509C: 82191980
	v_mfma_i32_16x16x32_i8 v[204:207], a[152:153], a[120:121], v[204:207]// 0000000050A0: D3D700CC 1F32F198
	s_add_u32 s20, s57, s20                                    // 0000000050A8: 80141439
	s_addc_u32 s21, 0, s21                                     // 0000000050AC: 82151580
	v_mfma_i32_16x16x32_i8 v[204:207], a[154:155], a[122:123], v[204:207]// 0000000050B0: D3D700CC 1F32F59A
	s_add_u32 s84, s83, s84                                    // 0000000050B8: 80545453
	s_addc_u32 s85, 0, s85                                     // 0000000050BC: 82555580
	v_mfma_i32_16x16x32_i8 v[204:207], a[156:157], a[124:125], v[204:207]// 0000000050C0: D3D700CC 1F32F99C
	v_mfma_i32_16x16x32_i8 v[204:207], a[158:159], a[126:127], v[204:207]// 0000000050C8: D3D700CC 1F32FD9E
	s_addk_i32 s80, 0x80                                       // 0000000050D0: B7500080
	s_cmp_lt_i32 s80, s81                                      // 0000000050D4: BF045150
	s_cbranch_scc0 label_0CC6                                  // 0000000050D8: BF84030F
	s_waitcnt vmcnt(20) lgkmcnt(0)                             // 0000000050DC: BF8C4074
	v_mfma_i32_16x16x32_i8 v[80:83], a[160:161], a[0:1], v[80:83]// 0000000050E0: D3D70050 1D4201A0
	v_mfma_i32_16x16x32_i8 v[80:83], a[162:163], a[2:3], v[80:83]// 0000000050E8: D3D70050 1D4205A2
	buffer_load_dwordx4 a[144:147], v78, s[24:27], 0 offen     // 0000000050F0: E05C1000 8086904E
	v_mfma_i32_16x16x32_i8 v[80:83], a[164:165], a[4:5], v[80:83]// 0000000050F8: D3D70050 1D4209A4
	v_mfma_i32_16x16x32_i8 v[80:83], a[166:167], a[6:7], v[80:83]// 000000005100: D3D70050 1D420DA6
	v_mfma_i32_16x16x32_i8 v[112:115], a[168:169], a[0:1], v[112:115]// 000000005108: D3D70070 1DC201A8
	v_mfma_i32_16x16x32_i8 v[112:115], a[170:171], a[2:3], v[112:115]// 000000005110: D3D70070 1DC205AA
	buffer_load_dwordx4 a[148:151], v78, s[24:27], 0 offen offset:1024// 000000005118: E05C1400 8086944E
	v_mfma_i32_16x16x32_i8 v[112:115], a[172:173], a[4:5], v[112:115]// 000000005120: D3D70070 1DC209AC
	v_mfma_i32_16x16x32_i8 v[112:115], a[174:175], a[6:7], v[112:115]// 000000005128: D3D70070 1DC20DAE
	v_mfma_i32_16x16x32_i8 v[84:87], a[160:161], a[8:9], v[84:87]// 000000005130: D3D70054 1D5211A0
	v_mfma_i32_16x16x32_i8 v[84:87], a[162:163], a[10:11], v[84:87]// 000000005138: D3D70054 1D5215A2
	buffer_load_dwordx4 a[152:155], v79, s[24:27], 0 offen     // 000000005140: E05C1000 8086984F
	v_mfma_i32_16x16x32_i8 v[84:87], a[164:165], a[12:13], v[84:87]// 000000005148: D3D70054 1D5219A4
	v_mfma_i32_16x16x32_i8 v[84:87], a[166:167], a[14:15], v[84:87]// 000000005150: D3D70054 1D521DA6
	v_mfma_i32_16x16x32_i8 v[116:119], a[168:169], a[8:9], v[116:119]// 000000005158: D3D70074 1DD211A8
	v_mfma_i32_16x16x32_i8 v[116:119], a[170:171], a[10:11], v[116:119]// 000000005160: D3D70074 1DD215AA
	buffer_load_dwordx4 a[156:159], v79, s[24:27], 0 offen offset:1024// 000000005168: E05C1400 80869C4F
	buffer_load_dword v62, s[20:23], 0 offen lds               // 000000005170: E0511000 8005003E
	s_add_u32 m0, 0x100, s48                                   // 000000005178: 807C30FF 00000100
	v_mfma_i32_16x16x32_i8 v[116:119], a[172:173], a[12:13], v[116:119]// 000000005180: D3D70074 1DD219AC
	v_mfma_i32_16x16x32_i8 v[116:119], a[174:175], a[14:15], v[116:119]// 000000005188: D3D70074 1DD21DAE
	buffer_load_dword v63, s[20:23], 0 offen lds               // 000000005190: E0511000 8005003F
	s_add_u32 m0, 0x200, s48                                   // 000000005198: 807C30FF 00000200
	v_mfma_i32_16x16x32_i8 v[88:91], a[160:161], a[16:17], v[88:91]// 0000000051A0: D3D70058 1D6221A0
	v_mfma_i32_16x16x32_i8 v[88:91], a[162:163], a[18:19], v[88:91]// 0000000051A8: D3D70058 1D6225A2
	buffer_load_dword v64, s[20:23], 0 offen lds               // 0000000051B0: E0511000 80050040
	s_add_u32 m0, 0x300, s48                                   // 0000000051B8: 807C30FF 00000300
	v_mfma_i32_16x16x32_i8 v[88:91], a[164:165], a[20:21], v[88:91]// 0000000051C0: D3D70058 1D6229A4
	v_mfma_i32_16x16x32_i8 v[88:91], a[166:167], a[22:23], v[88:91]// 0000000051C8: D3D70058 1D622DA6
	buffer_load_dword v65, s[20:23], 0 offen lds               // 0000000051D0: E0511000 80050041
	s_add_u32 m0, 0x400, s48                                   // 0000000051D8: 807C30FF 00000400
	v_mfma_i32_16x16x32_i8 v[120:123], a[168:169], a[16:17], v[120:123]// 0000000051E0: D3D70078 1DE221A8
	v_mfma_i32_16x16x32_i8 v[120:123], a[170:171], a[18:19], v[120:123]// 0000000051E8: D3D70078 1DE225AA
	buffer_load_dword v66, s[20:23], 0 offen lds               // 0000000051F0: E0511000 80050042
	s_add_u32 m0, 0x500, s48                                   // 0000000051F8: 807C30FF 00000500
	v_mfma_i32_16x16x32_i8 v[120:123], a[172:173], a[20:21], v[120:123]// 000000005200: D3D70078 1DE229AC
	v_mfma_i32_16x16x32_i8 v[120:123], a[174:175], a[22:23], v[120:123]// 000000005208: D3D70078 1DE22DAE
	buffer_load_dword v67, s[20:23], 0 offen lds               // 000000005210: E0511000 80050043
	s_add_u32 m0, 0x600, s48                                   // 000000005218: 807C30FF 00000600
	v_mfma_i32_16x16x32_i8 v[92:95], a[160:161], a[24:25], v[92:95]// 000000005220: D3D7005C 1D7231A0
	v_mfma_i32_16x16x32_i8 v[92:95], a[162:163], a[26:27], v[92:95]// 000000005228: D3D7005C 1D7235A2
	buffer_load_dword v68, s[20:23], 0 offen lds               // 000000005230: E0511000 80050044
	s_add_u32 m0, 0x700, s48                                   // 000000005238: 807C30FF 00000700
	v_mfma_i32_16x16x32_i8 v[92:95], a[164:165], a[28:29], v[92:95]// 000000005240: D3D7005C 1D7239A4
	v_mfma_i32_16x16x32_i8 v[92:95], a[166:167], a[30:31], v[92:95]// 000000005248: D3D7005C 1D723DA6
	buffer_load_dword v69, s[20:23], 0 offen lds               // 000000005250: E0511000 80050045
	s_add_u32 m0, 0x800, s48                                   // 000000005258: 807C30FF 00000800
	v_mfma_i32_16x16x32_i8 v[124:127], a[168:169], a[24:25], v[124:127]// 000000005260: D3D7007C 1DF231A8
	v_mfma_i32_16x16x32_i8 v[124:127], a[170:171], a[26:27], v[124:127]// 000000005268: D3D7007C 1DF235AA
	buffer_load_dword v70, s[20:23], 0 offen lds               // 000000005270: E0511000 80050046
	s_add_u32 m0, 0x900, s48                                   // 000000005278: 807C30FF 00000900
	v_mfma_i32_16x16x32_i8 v[124:127], a[172:173], a[28:29], v[124:127]// 000000005280: D3D7007C 1DF239AC
	v_mfma_i32_16x16x32_i8 v[124:127], a[174:175], a[30:31], v[124:127]// 000000005288: D3D7007C 1DF23DAE
	buffer_load_dword v71, s[20:23], 0 offen lds               // 000000005290: E0511000 80050047
	s_add_u32 m0, 0xa00, s48                                   // 000000005298: 807C30FF 00000A00
	v_mfma_i32_16x16x32_i8 v[96:99], a[160:161], a[32:33], v[96:99]// 0000000052A0: D3D70060 1D8241A0
	v_mfma_i32_16x16x32_i8 v[96:99], a[162:163], a[34:35], v[96:99]// 0000000052A8: D3D70060 1D8245A2
	v_mfma_i32_16x16x32_i8 v[96:99], a[164:165], a[36:37], v[96:99]// 0000000052B0: D3D70060 1D8249A4
	v_mfma_i32_16x16x32_i8 v[96:99], a[166:167], a[38:39], v[96:99]// 0000000052B8: D3D70060 1D824DA6
	v_mfma_i32_16x16x32_i8 v[128:131], a[168:169], a[32:33], v[128:131]// 0000000052C0: D3D70080 1E0241A8
	v_mfma_i32_16x16x32_i8 v[128:131], a[170:171], a[34:35], v[128:131]// 0000000052C8: D3D70080 1E0245AA
	v_mfma_i32_16x16x32_i8 v[128:131], a[172:173], a[36:37], v[128:131]// 0000000052D0: D3D70080 1E0249AC
	v_mfma_i32_16x16x32_i8 v[128:131], a[174:175], a[38:39], v[128:131]// 0000000052D8: D3D70080 1E024DAE
	v_mfma_i32_16x16x32_i8 v[100:103], a[160:161], a[40:41], v[100:103]// 0000000052E0: D3D70064 1D9251A0
	v_mfma_i32_16x16x32_i8 v[100:103], a[162:163], a[42:43], v[100:103]// 0000000052E8: D3D70064 1D9255A2
	buffer_load_dword v72, s[20:23], 0 offen lds               // 0000000052F0: E0511000 80050048
	s_add_u32 m0, 0xb00, s48                                   // 0000000052F8: 807C30FF 00000B00
	v_mfma_i32_16x16x32_i8 v[100:103], a[164:165], a[44:45], v[100:103]// 000000005300: D3D70064 1D9259A4
	v_mfma_i32_16x16x32_i8 v[100:103], a[166:167], a[46:47], v[100:103]// 000000005308: D3D70064 1D925DA6
	buffer_load_dword v73, s[20:23], 0 offen lds               // 000000005310: E0511000 80050049
	s_add_u32 m0, 0xc00, s48                                   // 000000005318: 807C30FF 00000C00
	v_mfma_i32_16x16x32_i8 v[132:135], a[168:169], a[40:41], v[132:135]// 000000005320: D3D70084 1E1251A8
	v_mfma_i32_16x16x32_i8 v[132:135], a[170:171], a[42:43], v[132:135]// 000000005328: D3D70084 1E1255AA
	buffer_load_dword v74, s[20:23], 0 offen lds               // 000000005330: E0511000 8005004A
	s_add_u32 m0, 0xd00, s48                                   // 000000005338: 807C30FF 00000D00
	v_mfma_i32_16x16x32_i8 v[132:135], a[172:173], a[44:45], v[132:135]// 000000005340: D3D70084 1E1259AC
	v_mfma_i32_16x16x32_i8 v[132:135], a[174:175], a[46:47], v[132:135]// 000000005348: D3D70084 1E125DAE
	buffer_load_dword v75, s[20:23], 0 offen lds               // 000000005350: E0511000 8005004B
	s_add_u32 m0, 0xe00, s48                                   // 000000005358: 807C30FF 00000E00
	v_mfma_i32_16x16x32_i8 v[104:107], a[160:161], a[48:49], v[104:107]// 000000005360: D3D70068 1DA261A0
	v_mfma_i32_16x16x32_i8 v[104:107], a[162:163], a[50:51], v[104:107]// 000000005368: D3D70068 1DA265A2
	v_mfma_i32_16x16x32_i8 v[104:107], a[164:165], a[52:53], v[104:107]// 000000005370: D3D70068 1DA269A4
	v_mfma_i32_16x16x32_i8 v[104:107], a[166:167], a[54:55], v[104:107]// 000000005378: D3D70068 1DA26DA6
	v_mfma_i32_16x16x32_i8 v[136:139], a[168:169], a[48:49], v[136:139]// 000000005380: D3D70088 1E2261A8
	v_mfma_i32_16x16x32_i8 v[136:139], a[170:171], a[50:51], v[136:139]// 000000005388: D3D70088 1E2265AA
	v_mfma_i32_16x16x32_i8 v[136:139], a[172:173], a[52:53], v[136:139]// 000000005390: D3D70088 1E2269AC
	v_mfma_i32_16x16x32_i8 v[136:139], a[174:175], a[54:55], v[136:139]// 000000005398: D3D70088 1E226DAE
	v_mfma_i32_16x16x32_i8 v[108:111], a[160:161], a[56:57], v[108:111]// 0000000053A0: D3D7006C 1DB271A0
	v_mfma_i32_16x16x32_i8 v[108:111], a[162:163], a[58:59], v[108:111]// 0000000053A8: D3D7006C 1DB275A2
	buffer_load_dword v76, s[20:23], 0 offen lds               // 0000000053B0: E0511000 8005004C
	s_add_u32 m0, 0xf00, s48                                   // 0000000053B8: 807C30FF 00000F00
	v_mfma_i32_16x16x32_i8 v[108:111], a[164:165], a[60:61], v[108:111]// 0000000053C0: D3D7006C 1DB279A4
	v_mfma_i32_16x16x32_i8 v[108:111], a[166:167], a[62:63], v[108:111]// 0000000053C8: D3D7006C 1DB27DA6
	buffer_load_dword v77, s[20:23], 0 offen lds               // 0000000053D0: E0511000 8005004D
	s_add_u32 m0, 0, s49                                       // 0000000053D8: 807C3180
	v_mfma_i32_16x16x32_i8 v[140:143], a[168:169], a[56:57], v[140:143]// 0000000053DC: D3D7008C 1E3271A8
	v_mfma_i32_16x16x32_i8 v[140:143], a[170:171], a[58:59], v[140:143]// 0000000053E4: D3D7008C 1E3275AA
	v_mfma_i32_16x16x32_i8 v[140:143], a[172:173], a[60:61], v[140:143]// 0000000053EC: D3D7008C 1E3279AC
	v_mfma_i32_16x16x32_i8 v[140:143], a[174:175], a[62:63], v[140:143]// 0000000053F4: D3D7008C 1E327DAE
	s_waitcnt vmcnt(20)                                        // 0000000053FC: BF8C4F74
	s_barrier                                                  // 000000005400: BF8A0000
	v_mfma_i32_16x16x32_i8 v[144:147], a[128:129], a[0:1], v[144:147]// 000000005404: D3D70090 1E420180
	v_mfma_i32_16x16x32_i8 v[144:147], a[130:131], a[2:3], v[144:147]// 00000000540C: D3D70090 1E420582
	buffer_load_dwordx4 a[160:163], v78, s[84:87], 0 offen     // 000000005414: E05C1000 8095A04E
	v_mfma_i32_16x16x32_i8 v[144:147], a[132:133], a[4:5], v[144:147]// 00000000541C: D3D70090 1E420984
	v_mfma_i32_16x16x32_i8 v[144:147], a[134:135], a[6:7], v[144:147]// 000000005424: D3D70090 1E420D86
	ds_read_b128 a[64:67], v2 offset:33024                     // 00000000542C: DBFE8100 40000002
	ds_read_b128 a[68:71], v2 offset:33088                     // 000000005434: DBFE8140 44000002
	v_mfma_i32_16x16x32_i8 v[176:179], a[136:137], a[0:1], v[176:179]// 00000000543C: D3D700B0 1EC20188
	v_mfma_i32_16x16x32_i8 v[176:179], a[138:139], a[2:3], v[176:179]// 000000005444: D3D700B0 1EC2058A
	buffer_load_dwordx4 a[164:167], v78, s[84:87], 0 offen offset:1024// 00000000544C: E05C1400 8095A44E
	v_mfma_i32_16x16x32_i8 v[176:179], a[140:141], a[4:5], v[176:179]// 000000005454: D3D700B0 1EC2098C
	v_mfma_i32_16x16x32_i8 v[176:179], a[142:143], a[6:7], v[176:179]// 00000000545C: D3D700B0 1EC20D8E
	ds_read_b128 a[72:75], v2 offset:33536                     // 000000005464: DBFE8300 48000002
	ds_read_b128 a[76:79], v2 offset:33600                     // 00000000546C: DBFE8340 4C000002
	v_mfma_i32_16x16x32_i8 v[148:151], a[128:129], a[8:9], v[148:151]// 000000005474: D3D70094 1E521180
	v_mfma_i32_16x16x32_i8 v[148:151], a[130:131], a[10:11], v[148:151]// 00000000547C: D3D70094 1E521582
	buffer_load_dwordx4 a[168:171], v79, s[84:87], 0 offen     // 000000005484: E05C1000 8095A84F
	v_mfma_i32_16x16x32_i8 v[148:151], a[132:133], a[12:13], v[148:151]// 00000000548C: D3D70094 1E521984
	v_mfma_i32_16x16x32_i8 v[148:151], a[134:135], a[14:15], v[148:151]// 000000005494: D3D70094 1E521D86
	ds_read_b128 a[80:83], v2 offset:34048                     // 00000000549C: DBFE8500 50000002
	ds_read_b128 a[84:87], v2 offset:34112                     // 0000000054A4: DBFE8540 54000002
	v_mfma_i32_16x16x32_i8 v[180:183], a[136:137], a[8:9], v[180:183]// 0000000054AC: D3D700B4 1ED21188
	v_mfma_i32_16x16x32_i8 v[180:183], a[138:139], a[10:11], v[180:183]// 0000000054B4: D3D700B4 1ED2158A
	buffer_load_dwordx4 a[172:175], v79, s[84:87], 0 offen offset:1024// 0000000054BC: E05C1400 8095AC4F
	v_mfma_i32_16x16x32_i8 v[180:183], a[140:141], a[12:13], v[180:183]// 0000000054C4: D3D700B4 1ED2198C
	v_mfma_i32_16x16x32_i8 v[180:183], a[142:143], a[14:15], v[180:183]// 0000000054CC: D3D700B4 1ED21D8E
	ds_read_b128 a[88:91], v2 offset:34560                     // 0000000054D4: DBFE8700 58000002
	ds_read_b128 a[92:95], v2 offset:34624                     // 0000000054DC: DBFE8740 5C000002
	v_mfma_i32_16x16x32_i8 v[152:155], a[128:129], a[16:17], v[152:155]// 0000000054E4: D3D70098 1E622180
	v_mfma_i32_16x16x32_i8 v[152:155], a[130:131], a[18:19], v[152:155]// 0000000054EC: D3D70098 1E622582
	v_mfma_i32_16x16x32_i8 v[152:155], a[132:133], a[20:21], v[152:155]// 0000000054F4: D3D70098 1E622984
	v_mfma_i32_16x16x32_i8 v[152:155], a[134:135], a[22:23], v[152:155]// 0000000054FC: D3D70098 1E622D86
	ds_read_b128 a[96:99], v2 offset:35072                     // 000000005504: DBFE8900 60000002
	ds_read_b128 a[100:103], v2 offset:35136                   // 00000000550C: DBFE8940 64000002
	v_mfma_i32_16x16x32_i8 v[184:187], a[136:137], a[16:17], v[184:187]// 000000005514: D3D700B8 1EE22188
	v_mfma_i32_16x16x32_i8 v[184:187], a[138:139], a[18:19], v[184:187]// 00000000551C: D3D700B8 1EE2258A
	v_mfma_i32_16x16x32_i8 v[184:187], a[140:141], a[20:21], v[184:187]// 000000005524: D3D700B8 1EE2298C
	v_mfma_i32_16x16x32_i8 v[184:187], a[142:143], a[22:23], v[184:187]// 00000000552C: D3D700B8 1EE22D8E
	ds_read_b128 a[104:107], v2 offset:35584                   // 000000005534: DBFE8B00 68000002
	ds_read_b128 a[108:111], v2 offset:35648                   // 00000000553C: DBFE8B40 6C000002
	v_mfma_i32_16x16x32_i8 v[156:159], a[128:129], a[24:25], v[156:159]// 000000005544: D3D7009C 1E723180
	v_mfma_i32_16x16x32_i8 v[156:159], a[130:131], a[26:27], v[156:159]// 00000000554C: D3D7009C 1E723582
	v_mfma_i32_16x16x32_i8 v[156:159], a[132:133], a[28:29], v[156:159]// 000000005554: D3D7009C 1E723984
	v_mfma_i32_16x16x32_i8 v[156:159], a[134:135], a[30:31], v[156:159]// 00000000555C: D3D7009C 1E723D86
	ds_read_b128 a[112:115], v2 offset:36096                   // 000000005564: DBFE8D00 70000002
	ds_read_b128 a[116:119], v2 offset:36160                   // 00000000556C: DBFE8D40 74000002
	v_mfma_i32_16x16x32_i8 v[188:191], a[136:137], a[24:25], v[188:191]// 000000005574: D3D700BC 1EF23188
	v_mfma_i32_16x16x32_i8 v[188:191], a[138:139], a[26:27], v[188:191]// 00000000557C: D3D700BC 1EF2358A
	v_mfma_i32_16x16x32_i8 v[188:191], a[140:141], a[28:29], v[188:191]// 000000005584: D3D700BC 1EF2398C
	v_mfma_i32_16x16x32_i8 v[188:191], a[142:143], a[30:31], v[188:191]// 00000000558C: D3D700BC 1EF23D8E
	ds_read_b128 a[120:123], v2 offset:36608                   // 000000005594: DBFE8F00 78000002
	ds_read_b128 a[124:127], v2 offset:36672                   // 00000000559C: DBFE8F40 7C000002
	v_mfma_i32_16x16x32_i8 v[160:163], a[128:129], a[32:33], v[160:163]// 0000000055A4: D3D700A0 1E824180
	v_mfma_i32_16x16x32_i8 v[160:163], a[130:131], a[34:35], v[160:163]// 0000000055AC: D3D700A0 1E824582
	v_mfma_i32_16x16x32_i8 v[160:163], a[132:133], a[36:37], v[160:163]// 0000000055B4: D3D700A0 1E824984
	v_mfma_i32_16x16x32_i8 v[160:163], a[134:135], a[38:39], v[160:163]// 0000000055BC: D3D700A0 1E824D86
	v_mfma_i32_16x16x32_i8 v[192:195], a[136:137], a[32:33], v[192:195]// 0000000055C4: D3D700C0 1F024188
	v_mfma_i32_16x16x32_i8 v[192:195], a[138:139], a[34:35], v[192:195]// 0000000055CC: D3D700C0 1F02458A
	v_mfma_i32_16x16x32_i8 v[192:195], a[140:141], a[36:37], v[192:195]// 0000000055D4: D3D700C0 1F02498C
	v_mfma_i32_16x16x32_i8 v[192:195], a[142:143], a[38:39], v[192:195]// 0000000055DC: D3D700C0 1F024D8E
	v_mfma_i32_16x16x32_i8 v[164:167], a[128:129], a[40:41], v[164:167]// 0000000055E4: D3D700A4 1E925180
	v_mfma_i32_16x16x32_i8 v[164:167], a[130:131], a[42:43], v[164:167]// 0000000055EC: D3D700A4 1E925582
	v_mfma_i32_16x16x32_i8 v[164:167], a[132:133], a[44:45], v[164:167]// 0000000055F4: D3D700A4 1E925984
	v_mfma_i32_16x16x32_i8 v[164:167], a[134:135], a[46:47], v[164:167]// 0000000055FC: D3D700A4 1E925D86
	v_mfma_i32_16x16x32_i8 v[196:199], a[136:137], a[40:41], v[196:199]// 000000005604: D3D700C4 1F125188
	v_mfma_i32_16x16x32_i8 v[196:199], a[138:139], a[42:43], v[196:199]// 00000000560C: D3D700C4 1F12558A
	v_mfma_i32_16x16x32_i8 v[196:199], a[140:141], a[44:45], v[196:199]// 000000005614: D3D700C4 1F12598C
	v_mfma_i32_16x16x32_i8 v[196:199], a[142:143], a[46:47], v[196:199]// 00000000561C: D3D700C4 1F125D8E
	v_mfma_i32_16x16x32_i8 v[168:171], a[128:129], a[48:49], v[168:171]// 000000005624: D3D700A8 1EA26180
	v_mfma_i32_16x16x32_i8 v[168:171], a[130:131], a[50:51], v[168:171]// 00000000562C: D3D700A8 1EA26582
	v_mfma_i32_16x16x32_i8 v[168:171], a[132:133], a[52:53], v[168:171]// 000000005634: D3D700A8 1EA26984
	v_mfma_i32_16x16x32_i8 v[168:171], a[134:135], a[54:55], v[168:171]// 00000000563C: D3D700A8 1EA26D86
	v_mfma_i32_16x16x32_i8 v[200:203], a[136:137], a[48:49], v[200:203]// 000000005644: D3D700C8 1F226188
	v_mfma_i32_16x16x32_i8 v[200:203], a[138:139], a[50:51], v[200:203]// 00000000564C: D3D700C8 1F22658A
	v_mfma_i32_16x16x32_i8 v[200:203], a[140:141], a[52:53], v[200:203]// 000000005654: D3D700C8 1F22698C
	v_mfma_i32_16x16x32_i8 v[200:203], a[142:143], a[54:55], v[200:203]// 00000000565C: D3D700C8 1F226D8E
	v_mfma_i32_16x16x32_i8 v[172:175], a[128:129], a[56:57], v[172:175]// 000000005664: D3D700AC 1EB27180
	s_add_u32 s60, 0x180, s80                                  // 00000000566C: 803C50FF 00000180
	s_cmp_lt_u32 s60, s81                                      // 000000005674: BF0A513C
	s_cselect_b32 s57, s57, 0                                  // 000000005678: 85398039
	v_mfma_i32_16x16x32_i8 v[172:175], a[130:131], a[58:59], v[172:175]// 00000000567C: D3D700AC 1EB27582
	s_add_u32 s60, 0x100, s80                                  // 000000005684: 803C50FF 00000100
	s_cmp_lt_u32 s60, s81                                      // 00000000568C: BF0A513C
	s_cselect_b32 s58, s58, 0                                  // 000000005690: 853A803A
	v_mfma_i32_16x16x32_i8 v[172:175], a[132:133], a[60:61], v[172:175]// 000000005694: D3D700AC 1EB27984
	s_add_u32 s60, 0x100, s80                                  // 00000000569C: 803C50FF 00000100
	s_cmp_lt_u32 s60, s81                                      // 0000000056A4: BF0A513C
	s_cselect_b32 s83, s83, 0                                  // 0000000056A8: 85538053
	v_mfma_i32_16x16x32_i8 v[172:175], a[134:135], a[62:63], v[172:175]// 0000000056AC: D3D700AC 1EB27D86
	s_add_u32 s24, s58, s24                                    // 0000000056B4: 8018183A
	s_addc_u32 s25, 0, s25                                     // 0000000056B8: 82191980
	v_mfma_i32_16x16x32_i8 v[204:207], a[136:137], a[56:57], v[204:207]// 0000000056BC: D3D700CC 1F327188
	s_add_u32 s20, s57, s20                                    // 0000000056C4: 80141439
	s_addc_u32 s21, 0, s21                                     // 0000000056C8: 82151580
	v_mfma_i32_16x16x32_i8 v[204:207], a[138:139], a[58:59], v[204:207]// 0000000056CC: D3D700CC 1F32758A
	s_add_u32 s84, s83, s84                                    // 0000000056D4: 80545453
	s_addc_u32 s85, 0, s85                                     // 0000000056D8: 82555580
	v_mfma_i32_16x16x32_i8 v[204:207], a[140:141], a[60:61], v[204:207]// 0000000056DC: D3D700CC 1F32798C
	v_mfma_i32_16x16x32_i8 v[204:207], a[142:143], a[62:63], v[204:207]// 0000000056E4: D3D700CC 1F327D8E
	s_addk_i32 s80, 0x80                                       // 0000000056EC: B7500080
	s_cmp_lt_i32 s80, s81                                      // 0000000056F0: BF045150
	s_cbranch_scc0 label_0CC6                                  // 0000000056F4: BF840188
	s_waitcnt vmcnt(20) lgkmcnt(0)                             // 0000000056F8: BF8C4074
	v_mfma_i32_16x16x32_i8 v[80:83], a[144:145], a[64:65], v[80:83]// 0000000056FC: D3D70050 1D428190
	v_mfma_i32_16x16x32_i8 v[80:83], a[146:147], a[66:67], v[80:83]// 000000005704: D3D70050 1D428592
	buffer_load_dwordx4 a[128:131], v78, s[24:27], 0 offen     // 00000000570C: E05C1000 8086804E
	v_mfma_i32_16x16x32_i8 v[80:83], a[148:149], a[68:69], v[80:83]// 000000005714: D3D70050 1D428994
	v_mfma_i32_16x16x32_i8 v[80:83], a[150:151], a[70:71], v[80:83]// 00000000571C: D3D70050 1D428D96
	v_mfma_i32_16x16x32_i8 v[112:115], a[152:153], a[64:65], v[112:115]// 000000005724: D3D70070 1DC28198
	v_mfma_i32_16x16x32_i8 v[112:115], a[154:155], a[66:67], v[112:115]// 00000000572C: D3D70070 1DC2859A
	buffer_load_dwordx4 a[132:135], v78, s[24:27], 0 offen offset:1024// 000000005734: E05C1400 8086844E
	v_mfma_i32_16x16x32_i8 v[112:115], a[156:157], a[68:69], v[112:115]// 00000000573C: D3D70070 1DC2899C
	v_mfma_i32_16x16x32_i8 v[112:115], a[158:159], a[70:71], v[112:115]// 000000005744: D3D70070 1DC28D9E
	v_mfma_i32_16x16x32_i8 v[84:87], a[144:145], a[72:73], v[84:87]// 00000000574C: D3D70054 1D529190
	v_mfma_i32_16x16x32_i8 v[84:87], a[146:147], a[74:75], v[84:87]// 000000005754: D3D70054 1D529592
	buffer_load_dwordx4 a[136:139], v79, s[24:27], 0 offen     // 00000000575C: E05C1000 8086884F
	v_mfma_i32_16x16x32_i8 v[84:87], a[148:149], a[76:77], v[84:87]// 000000005764: D3D70054 1D529994
	v_mfma_i32_16x16x32_i8 v[84:87], a[150:151], a[78:79], v[84:87]// 00000000576C: D3D70054 1D529D96
	v_mfma_i32_16x16x32_i8 v[116:119], a[152:153], a[72:73], v[116:119]// 000000005774: D3D70074 1DD29198
	v_mfma_i32_16x16x32_i8 v[116:119], a[154:155], a[74:75], v[116:119]// 00000000577C: D3D70074 1DD2959A
	buffer_load_dwordx4 a[140:143], v79, s[24:27], 0 offen offset:1024// 000000005784: E05C1400 80868C4F
	buffer_load_dword v62, s[20:23], 0 offen lds               // 00000000578C: E0511000 8005003E
	s_add_u32 m0, 0x100, s49                                   // 000000005794: 807C31FF 00000100
	v_mfma_i32_16x16x32_i8 v[116:119], a[156:157], a[76:77], v[116:119]// 00000000579C: D3D70074 1DD2999C
	v_mfma_i32_16x16x32_i8 v[116:119], a[158:159], a[78:79], v[116:119]// 0000000057A4: D3D70074 1DD29D9E
	buffer_load_dword v63, s[20:23], 0 offen lds               // 0000000057AC: E0511000 8005003F
	s_add_u32 m0, 0x200, s49                                   // 0000000057B4: 807C31FF 00000200
	v_mfma_i32_16x16x32_i8 v[88:91], a[144:145], a[80:81], v[88:91]// 0000000057BC: D3D70058 1D62A190
	v_mfma_i32_16x16x32_i8 v[88:91], a[146:147], a[82:83], v[88:91]// 0000000057C4: D3D70058 1D62A592
	buffer_load_dword v64, s[20:23], 0 offen lds               // 0000000057CC: E0511000 80050040
	s_add_u32 m0, 0x300, s49                                   // 0000000057D4: 807C31FF 00000300
	v_mfma_i32_16x16x32_i8 v[88:91], a[148:149], a[84:85], v[88:91]// 0000000057DC: D3D70058 1D62A994
	v_mfma_i32_16x16x32_i8 v[88:91], a[150:151], a[86:87], v[88:91]// 0000000057E4: D3D70058 1D62AD96
	buffer_load_dword v65, s[20:23], 0 offen lds               // 0000000057EC: E0511000 80050041
	s_add_u32 m0, 0x400, s49                                   // 0000000057F4: 807C31FF 00000400
	v_mfma_i32_16x16x32_i8 v[120:123], a[152:153], a[80:81], v[120:123]// 0000000057FC: D3D70078 1DE2A198
	v_mfma_i32_16x16x32_i8 v[120:123], a[154:155], a[82:83], v[120:123]// 000000005804: D3D70078 1DE2A59A
	buffer_load_dword v66, s[20:23], 0 offen lds               // 00000000580C: E0511000 80050042
	s_add_u32 m0, 0x500, s49                                   // 000000005814: 807C31FF 00000500
	v_mfma_i32_16x16x32_i8 v[120:123], a[156:157], a[84:85], v[120:123]// 00000000581C: D3D70078 1DE2A99C
	v_mfma_i32_16x16x32_i8 v[120:123], a[158:159], a[86:87], v[120:123]// 000000005824: D3D70078 1DE2AD9E
	buffer_load_dword v67, s[20:23], 0 offen lds               // 00000000582C: E0511000 80050043
	s_add_u32 m0, 0x600, s49                                   // 000000005834: 807C31FF 00000600
	v_mfma_i32_16x16x32_i8 v[92:95], a[144:145], a[88:89], v[92:95]// 00000000583C: D3D7005C 1D72B190
	v_mfma_i32_16x16x32_i8 v[92:95], a[146:147], a[90:91], v[92:95]// 000000005844: D3D7005C 1D72B592
	buffer_load_dword v68, s[20:23], 0 offen lds               // 00000000584C: E0511000 80050044
	s_add_u32 m0, 0x700, s49                                   // 000000005854: 807C31FF 00000700
	v_mfma_i32_16x16x32_i8 v[92:95], a[148:149], a[92:93], v[92:95]// 00000000585C: D3D7005C 1D72B994
	v_mfma_i32_16x16x32_i8 v[92:95], a[150:151], a[94:95], v[92:95]// 000000005864: D3D7005C 1D72BD96
	buffer_load_dword v69, s[20:23], 0 offen lds               // 00000000586C: E0511000 80050045
	s_add_u32 m0, 0x800, s49                                   // 000000005874: 807C31FF 00000800
	v_mfma_i32_16x16x32_i8 v[124:127], a[152:153], a[88:89], v[124:127]// 00000000587C: D3D7007C 1DF2B198
	v_mfma_i32_16x16x32_i8 v[124:127], a[154:155], a[90:91], v[124:127]// 000000005884: D3D7007C 1DF2B59A
	buffer_load_dword v70, s[20:23], 0 offen lds               // 00000000588C: E0511000 80050046
	s_add_u32 m0, 0x900, s49                                   // 000000005894: 807C31FF 00000900
	v_mfma_i32_16x16x32_i8 v[124:127], a[156:157], a[92:93], v[124:127]// 00000000589C: D3D7007C 1DF2B99C
	v_mfma_i32_16x16x32_i8 v[124:127], a[158:159], a[94:95], v[124:127]// 0000000058A4: D3D7007C 1DF2BD9E
	buffer_load_dword v71, s[20:23], 0 offen lds               // 0000000058AC: E0511000 80050047
	s_add_u32 m0, 0xa00, s49                                   // 0000000058B4: 807C31FF 00000A00
	v_mfma_i32_16x16x32_i8 v[96:99], a[144:145], a[96:97], v[96:99]// 0000000058BC: D3D70060 1D82C190
	v_mfma_i32_16x16x32_i8 v[96:99], a[146:147], a[98:99], v[96:99]// 0000000058C4: D3D70060 1D82C592
	v_mfma_i32_16x16x32_i8 v[96:99], a[148:149], a[100:101], v[96:99]// 0000000058CC: D3D70060 1D82C994
	v_mfma_i32_16x16x32_i8 v[96:99], a[150:151], a[102:103], v[96:99]// 0000000058D4: D3D70060 1D82CD96
	v_mfma_i32_16x16x32_i8 v[128:131], a[152:153], a[96:97], v[128:131]// 0000000058DC: D3D70080 1E02C198
	v_mfma_i32_16x16x32_i8 v[128:131], a[154:155], a[98:99], v[128:131]// 0000000058E4: D3D70080 1E02C59A
	v_mfma_i32_16x16x32_i8 v[128:131], a[156:157], a[100:101], v[128:131]// 0000000058EC: D3D70080 1E02C99C
	v_mfma_i32_16x16x32_i8 v[128:131], a[158:159], a[102:103], v[128:131]// 0000000058F4: D3D70080 1E02CD9E
	v_mfma_i32_16x16x32_i8 v[100:103], a[144:145], a[104:105], v[100:103]// 0000000058FC: D3D70064 1D92D190
	v_mfma_i32_16x16x32_i8 v[100:103], a[146:147], a[106:107], v[100:103]// 000000005904: D3D70064 1D92D592
	buffer_load_dword v72, s[20:23], 0 offen lds               // 00000000590C: E0511000 80050048
	s_add_u32 m0, 0xb00, s49                                   // 000000005914: 807C31FF 00000B00
	v_mfma_i32_16x16x32_i8 v[100:103], a[148:149], a[108:109], v[100:103]// 00000000591C: D3D70064 1D92D994
	v_mfma_i32_16x16x32_i8 v[100:103], a[150:151], a[110:111], v[100:103]// 000000005924: D3D70064 1D92DD96
	buffer_load_dword v73, s[20:23], 0 offen lds               // 00000000592C: E0511000 80050049
	s_add_u32 m0, 0xc00, s49                                   // 000000005934: 807C31FF 00000C00
	v_mfma_i32_16x16x32_i8 v[132:135], a[152:153], a[104:105], v[132:135]// 00000000593C: D3D70084 1E12D198
	v_mfma_i32_16x16x32_i8 v[132:135], a[154:155], a[106:107], v[132:135]// 000000005944: D3D70084 1E12D59A
	buffer_load_dword v74, s[20:23], 0 offen lds               // 00000000594C: E0511000 8005004A
	s_add_u32 m0, 0xd00, s49                                   // 000000005954: 807C31FF 00000D00
	v_mfma_i32_16x16x32_i8 v[132:135], a[156:157], a[108:109], v[132:135]// 00000000595C: D3D70084 1E12D99C
	v_mfma_i32_16x16x32_i8 v[132:135], a[158:159], a[110:111], v[132:135]// 000000005964: D3D70084 1E12DD9E
	buffer_load_dword v75, s[20:23], 0 offen lds               // 00000000596C: E0511000 8005004B
	s_add_u32 m0, 0xe00, s49                                   // 000000005974: 807C31FF 00000E00
	v_mfma_i32_16x16x32_i8 v[104:107], a[144:145], a[112:113], v[104:107]// 00000000597C: D3D70068 1DA2E190
	v_mfma_i32_16x16x32_i8 v[104:107], a[146:147], a[114:115], v[104:107]// 000000005984: D3D70068 1DA2E592
	v_mfma_i32_16x16x32_i8 v[104:107], a[148:149], a[116:117], v[104:107]// 00000000598C: D3D70068 1DA2E994
	v_mfma_i32_16x16x32_i8 v[104:107], a[150:151], a[118:119], v[104:107]// 000000005994: D3D70068 1DA2ED96
	v_mfma_i32_16x16x32_i8 v[136:139], a[152:153], a[112:113], v[136:139]// 00000000599C: D3D70088 1E22E198
	v_mfma_i32_16x16x32_i8 v[136:139], a[154:155], a[114:115], v[136:139]// 0000000059A4: D3D70088 1E22E59A
	v_mfma_i32_16x16x32_i8 v[136:139], a[156:157], a[116:117], v[136:139]// 0000000059AC: D3D70088 1E22E99C
	v_mfma_i32_16x16x32_i8 v[136:139], a[158:159], a[118:119], v[136:139]// 0000000059B4: D3D70088 1E22ED9E
	v_mfma_i32_16x16x32_i8 v[108:111], a[144:145], a[120:121], v[108:111]// 0000000059BC: D3D7006C 1DB2F190
	v_mfma_i32_16x16x32_i8 v[108:111], a[146:147], a[122:123], v[108:111]// 0000000059C4: D3D7006C 1DB2F592
	buffer_load_dword v76, s[20:23], 0 offen lds               // 0000000059CC: E0511000 8005004C
	s_add_u32 m0, 0xf00, s49                                   // 0000000059D4: 807C31FF 00000F00
	v_mfma_i32_16x16x32_i8 v[108:111], a[148:149], a[124:125], v[108:111]// 0000000059DC: D3D7006C 1DB2F994
	v_mfma_i32_16x16x32_i8 v[108:111], a[150:151], a[126:127], v[108:111]// 0000000059E4: D3D7006C 1DB2FD96
	buffer_load_dword v77, s[20:23], 0 offen lds               // 0000000059EC: E0511000 8005004D
	s_add_u32 m0, 0, s50                                       // 0000000059F4: 807C3280
	v_mfma_i32_16x16x32_i8 v[140:143], a[152:153], a[120:121], v[140:143]// 0000000059F8: D3D7008C 1E32F198
	v_mfma_i32_16x16x32_i8 v[140:143], a[154:155], a[122:123], v[140:143]// 000000005A00: D3D7008C 1E32F59A
	v_mfma_i32_16x16x32_i8 v[140:143], a[156:157], a[124:125], v[140:143]// 000000005A08: D3D7008C 1E32F99C
	v_mfma_i32_16x16x32_i8 v[140:143], a[158:159], a[126:127], v[140:143]// 000000005A10: D3D7008C 1E32FD9E
	s_waitcnt vmcnt(20)                                        // 000000005A18: BF8C4F74
	s_barrier                                                  // 000000005A1C: BF8A0000
	v_mfma_i32_16x16x32_i8 v[144:147], a[160:161], a[64:65], v[144:147]// 000000005A20: D3D70090 1E4281A0
	v_mfma_i32_16x16x32_i8 v[144:147], a[162:163], a[66:67], v[144:147]// 000000005A28: D3D70090 1E4285A2
	buffer_load_dwordx4 a[144:147], v78, s[84:87], 0 offen     // 000000005A30: E05C1000 8095904E
	v_mfma_i32_16x16x32_i8 v[144:147], a[164:165], a[68:69], v[144:147]// 000000005A38: D3D70090 1E4289A4
	v_mfma_i32_16x16x32_i8 v[144:147], a[166:167], a[70:71], v[144:147]// 000000005A40: D3D70090 1E428DA6
	ds_read_b128 a[0:3], v2                                    // 000000005A48: DBFE0000 00000002
	ds_read_b128 a[4:7], v2 offset:64                          // 000000005A50: DBFE0040 04000002
	v_mfma_i32_16x16x32_i8 v[176:179], a[168:169], a[64:65], v[176:179]// 000000005A58: D3D700B0 1EC281A8
	v_mfma_i32_16x16x32_i8 v[176:179], a[170:171], a[66:67], v[176:179]// 000000005A60: D3D700B0 1EC285AA
	buffer_load_dwordx4 a[148:151], v78, s[84:87], 0 offen offset:1024// 000000005A68: E05C1400 8095944E
	v_mfma_i32_16x16x32_i8 v[176:179], a[172:173], a[68:69], v[176:179]// 000000005A70: D3D700B0 1EC289AC
	v_mfma_i32_16x16x32_i8 v[176:179], a[174:175], a[70:71], v[176:179]// 000000005A78: D3D700B0 1EC28DAE
	ds_read_b128 a[8:11], v2 offset:512                        // 000000005A80: DBFE0200 08000002
	ds_read_b128 a[12:15], v2 offset:576                       // 000000005A88: DBFE0240 0C000002
	v_mfma_i32_16x16x32_i8 v[148:151], a[160:161], a[72:73], v[148:151]// 000000005A90: D3D70094 1E5291A0
	v_mfma_i32_16x16x32_i8 v[148:151], a[162:163], a[74:75], v[148:151]// 000000005A98: D3D70094 1E5295A2
	buffer_load_dwordx4 a[152:155], v79, s[84:87], 0 offen     // 000000005AA0: E05C1000 8095984F
	v_mfma_i32_16x16x32_i8 v[148:151], a[164:165], a[76:77], v[148:151]// 000000005AA8: D3D70094 1E5299A4
	v_mfma_i32_16x16x32_i8 v[148:151], a[166:167], a[78:79], v[148:151]// 000000005AB0: D3D70094 1E529DA6
	ds_read_b128 a[16:19], v2 offset:1024                      // 000000005AB8: DBFE0400 10000002
	ds_read_b128 a[20:23], v2 offset:1088                      // 000000005AC0: DBFE0440 14000002
	v_mfma_i32_16x16x32_i8 v[180:183], a[168:169], a[72:73], v[180:183]// 000000005AC8: D3D700B4 1ED291A8
	v_mfma_i32_16x16x32_i8 v[180:183], a[170:171], a[74:75], v[180:183]// 000000005AD0: D3D700B4 1ED295AA
	buffer_load_dwordx4 a[156:159], v79, s[84:87], 0 offen offset:1024// 000000005AD8: E05C1400 80959C4F
	v_mfma_i32_16x16x32_i8 v[180:183], a[172:173], a[76:77], v[180:183]// 000000005AE0: D3D700B4 1ED299AC
	v_mfma_i32_16x16x32_i8 v[180:183], a[174:175], a[78:79], v[180:183]// 000000005AE8: D3D700B4 1ED29DAE
	ds_read_b128 a[24:27], v2 offset:1536                      // 000000005AF0: DBFE0600 18000002
	ds_read_b128 a[28:31], v2 offset:1600                      // 000000005AF8: DBFE0640 1C000002
	v_mfma_i32_16x16x32_i8 v[152:155], a[160:161], a[80:81], v[152:155]// 000000005B00: D3D70098 1E62A1A0
	v_mfma_i32_16x16x32_i8 v[152:155], a[162:163], a[82:83], v[152:155]// 000000005B08: D3D70098 1E62A5A2
	v_mfma_i32_16x16x32_i8 v[152:155], a[164:165], a[84:85], v[152:155]// 000000005B10: D3D70098 1E62A9A4
	v_mfma_i32_16x16x32_i8 v[152:155], a[166:167], a[86:87], v[152:155]// 000000005B18: D3D70098 1E62ADA6
	ds_read_b128 a[32:35], v2 offset:2048                      // 000000005B20: DBFE0800 20000002
	ds_read_b128 a[36:39], v2 offset:2112                      // 000000005B28: DBFE0840 24000002
	v_mfma_i32_16x16x32_i8 v[184:187], a[168:169], a[80:81], v[184:187]// 000000005B30: D3D700B8 1EE2A1A8
	v_mfma_i32_16x16x32_i8 v[184:187], a[170:171], a[82:83], v[184:187]// 000000005B38: D3D700B8 1EE2A5AA
	v_mfma_i32_16x16x32_i8 v[184:187], a[172:173], a[84:85], v[184:187]// 000000005B40: D3D700B8 1EE2A9AC
	v_mfma_i32_16x16x32_i8 v[184:187], a[174:175], a[86:87], v[184:187]// 000000005B48: D3D700B8 1EE2ADAE
	ds_read_b128 a[40:43], v2 offset:2560                      // 000000005B50: DBFE0A00 28000002
	ds_read_b128 a[44:47], v2 offset:2624                      // 000000005B58: DBFE0A40 2C000002
	v_mfma_i32_16x16x32_i8 v[156:159], a[160:161], a[88:89], v[156:159]// 000000005B60: D3D7009C 1E72B1A0
	v_mfma_i32_16x16x32_i8 v[156:159], a[162:163], a[90:91], v[156:159]// 000000005B68: D3D7009C 1E72B5A2
	v_mfma_i32_16x16x32_i8 v[156:159], a[164:165], a[92:93], v[156:159]// 000000005B70: D3D7009C 1E72B9A4
	v_mfma_i32_16x16x32_i8 v[156:159], a[166:167], a[94:95], v[156:159]// 000000005B78: D3D7009C 1E72BDA6
	ds_read_b128 a[48:51], v2 offset:3072                      // 000000005B80: DBFE0C00 30000002
	ds_read_b128 a[52:55], v2 offset:3136                      // 000000005B88: DBFE0C40 34000002
	v_mfma_i32_16x16x32_i8 v[188:191], a[168:169], a[88:89], v[188:191]// 000000005B90: D3D700BC 1EF2B1A8
	v_mfma_i32_16x16x32_i8 v[188:191], a[170:171], a[90:91], v[188:191]// 000000005B98: D3D700BC 1EF2B5AA
	v_mfma_i32_16x16x32_i8 v[188:191], a[172:173], a[92:93], v[188:191]// 000000005BA0: D3D700BC 1EF2B9AC
	v_mfma_i32_16x16x32_i8 v[188:191], a[174:175], a[94:95], v[188:191]// 000000005BA8: D3D700BC 1EF2BDAE
	ds_read_b128 a[56:59], v2 offset:3584                      // 000000005BB0: DBFE0E00 38000002
	ds_read_b128 a[60:63], v2 offset:3648                      // 000000005BB8: DBFE0E40 3C000002
	v_mfma_i32_16x16x32_i8 v[160:163], a[160:161], a[96:97], v[160:163]// 000000005BC0: D3D700A0 1E82C1A0
	v_mfma_i32_16x16x32_i8 v[160:163], a[162:163], a[98:99], v[160:163]// 000000005BC8: D3D700A0 1E82C5A2
	v_mfma_i32_16x16x32_i8 v[160:163], a[164:165], a[100:101], v[160:163]// 000000005BD0: D3D700A0 1E82C9A4
	v_mfma_i32_16x16x32_i8 v[160:163], a[166:167], a[102:103], v[160:163]// 000000005BD8: D3D700A0 1E82CDA6
	v_mfma_i32_16x16x32_i8 v[192:195], a[168:169], a[96:97], v[192:195]// 000000005BE0: D3D700C0 1F02C1A8
	v_mfma_i32_16x16x32_i8 v[192:195], a[170:171], a[98:99], v[192:195]// 000000005BE8: D3D700C0 1F02C5AA
	v_mfma_i32_16x16x32_i8 v[192:195], a[172:173], a[100:101], v[192:195]// 000000005BF0: D3D700C0 1F02C9AC
	v_mfma_i32_16x16x32_i8 v[192:195], a[174:175], a[102:103], v[192:195]// 000000005BF8: D3D700C0 1F02CDAE
	v_mfma_i32_16x16x32_i8 v[164:167], a[160:161], a[104:105], v[164:167]// 000000005C00: D3D700A4 1E92D1A0
	v_mfma_i32_16x16x32_i8 v[164:167], a[162:163], a[106:107], v[164:167]// 000000005C08: D3D700A4 1E92D5A2
	v_mfma_i32_16x16x32_i8 v[164:167], a[164:165], a[108:109], v[164:167]// 000000005C10: D3D700A4 1E92D9A4
	v_mfma_i32_16x16x32_i8 v[164:167], a[166:167], a[110:111], v[164:167]// 000000005C18: D3D700A4 1E92DDA6
	v_mfma_i32_16x16x32_i8 v[196:199], a[168:169], a[104:105], v[196:199]// 000000005C20: D3D700C4 1F12D1A8
	v_mfma_i32_16x16x32_i8 v[196:199], a[170:171], a[106:107], v[196:199]// 000000005C28: D3D700C4 1F12D5AA
	v_mfma_i32_16x16x32_i8 v[196:199], a[172:173], a[108:109], v[196:199]// 000000005C30: D3D700C4 1F12D9AC
	v_mfma_i32_16x16x32_i8 v[196:199], a[174:175], a[110:111], v[196:199]// 000000005C38: D3D700C4 1F12DDAE
	v_mfma_i32_16x16x32_i8 v[168:171], a[160:161], a[112:113], v[168:171]// 000000005C40: D3D700A8 1EA2E1A0
	v_mfma_i32_16x16x32_i8 v[168:171], a[162:163], a[114:115], v[168:171]// 000000005C48: D3D700A8 1EA2E5A2
	v_mfma_i32_16x16x32_i8 v[168:171], a[164:165], a[116:117], v[168:171]// 000000005C50: D3D700A8 1EA2E9A4
	v_mfma_i32_16x16x32_i8 v[168:171], a[166:167], a[118:119], v[168:171]// 000000005C58: D3D700A8 1EA2EDA6
	v_mfma_i32_16x16x32_i8 v[200:203], a[168:169], a[112:113], v[200:203]// 000000005C60: D3D700C8 1F22E1A8
	v_mfma_i32_16x16x32_i8 v[200:203], a[170:171], a[114:115], v[200:203]// 000000005C68: D3D700C8 1F22E5AA
	v_mfma_i32_16x16x32_i8 v[200:203], a[172:173], a[116:117], v[200:203]// 000000005C70: D3D700C8 1F22E9AC
	v_mfma_i32_16x16x32_i8 v[200:203], a[174:175], a[118:119], v[200:203]// 000000005C78: D3D700C8 1F22EDAE
	v_mfma_i32_16x16x32_i8 v[172:175], a[160:161], a[120:121], v[172:175]// 000000005C80: D3D700AC 1EB2F1A0
	s_add_u32 s60, 0x180, s80                                  // 000000005C88: 803C50FF 00000180
	s_cmp_lt_u32 s60, s81                                      // 000000005C90: BF0A513C
	s_cselect_b32 s57, s57, 0                                  // 000000005C94: 85398039
	v_mfma_i32_16x16x32_i8 v[172:175], a[162:163], a[122:123], v[172:175]// 000000005C98: D3D700AC 1EB2F5A2
	s_add_u32 s60, 0x100, s80                                  // 000000005CA0: 803C50FF 00000100
	s_cmp_lt_u32 s60, s81                                      // 000000005CA8: BF0A513C
	s_cselect_b32 s58, s58, 0                                  // 000000005CAC: 853A803A
	v_mfma_i32_16x16x32_i8 v[172:175], a[164:165], a[124:125], v[172:175]// 000000005CB0: D3D700AC 1EB2F9A4
	s_add_u32 s60, 0x100, s80                                  // 000000005CB8: 803C50FF 00000100
	s_cmp_lt_u32 s60, s81                                      // 000000005CC0: BF0A513C
	s_cselect_b32 s83, s83, 0                                  // 000000005CC4: 85538053
	v_mfma_i32_16x16x32_i8 v[172:175], a[166:167], a[126:127], v[172:175]// 000000005CC8: D3D700AC 1EB2FDA6
	s_add_u32 s24, s58, s24                                    // 000000005CD0: 8018183A
	s_addc_u32 s25, 0, s25                                     // 000000005CD4: 82191980
	v_mfma_i32_16x16x32_i8 v[204:207], a[168:169], a[120:121], v[204:207]// 000000005CD8: D3D700CC 1F32F1A8
	s_add_u32 s20, s57, s20                                    // 000000005CE0: 80141439
	s_addc_u32 s21, 0, s21                                     // 000000005CE4: 82151580
	v_mfma_i32_16x16x32_i8 v[204:207], a[170:171], a[122:123], v[204:207]// 000000005CE8: D3D700CC 1F32F5AA
	s_add_u32 s84, s83, s84                                    // 000000005CF0: 80545453
	s_addc_u32 s85, 0, s85                                     // 000000005CF4: 82555580
	v_mfma_i32_16x16x32_i8 v[204:207], a[172:173], a[124:125], v[204:207]// 000000005CF8: D3D700CC 1F32F9AC
	v_mfma_i32_16x16x32_i8 v[204:207], a[174:175], a[126:127], v[204:207]// 000000005D00: D3D700CC 1F32FDAE
	s_addk_i32 s80, 0x80                                       // 000000005D08: B7500080
	s_cmp_lt_i32 s80, s81                                      // 000000005D0C: BF045150
	s_cbranch_scc0 label_0CC6                                  // 000000005D10: BF840001
	s_branch label_039B                                        // 000000005D14: BF82F6D5

0000000000005d18 <label_0CC6>:
	v_cvt_f32_i32_e32 v80, v80                                 // 000000005D18: 7EA00B50
	v_cvt_f32_i32_e32 v81, v81                                 // 000000005D1C: 7EA20B51
	v_cvt_f32_i32_e32 v82, v82                                 // 000000005D20: 7EA40B52
	v_cvt_f32_i32_e32 v83, v83                                 // 000000005D24: 7EA60B53
	v_mul_f32_dpp v80, v24, v80 row_newbcast:0 row_mask:0xf bank_mask:0xf// 000000005D28: 0AA0A0FA FF015018
	v_mul_f32_dpp v81, v24, v81 row_newbcast:1 row_mask:0xf bank_mask:0xf// 000000005D30: 0AA2A2FA FF015118
	v_mul_f32_dpp v82, v24, v82 row_newbcast:2 row_mask:0xf bank_mask:0xf// 000000005D38: 0AA4A4FA FF015218
	v_mul_f32_dpp v83, v24, v83 row_newbcast:3 row_mask:0xf bank_mask:0xf// 000000005D40: 0AA6A6FA FF015318
	v_cvt_f32_i32_e32 v84, v84                                 // 000000005D48: 7EA80B54
	v_cvt_f32_i32_e32 v85, v85                                 // 000000005D4C: 7EAA0B55
	v_cvt_f32_i32_e32 v86, v86                                 // 000000005D50: 7EAC0B56
	v_cvt_f32_i32_e32 v87, v87                                 // 000000005D54: 7EAE0B57
	v_mul_f32_dpp v84, v24, v84 row_newbcast:0 row_mask:0xf bank_mask:0xf// 000000005D58: 0AA8A8FA FF015018
	v_mul_f32_dpp v85, v24, v85 row_newbcast:1 row_mask:0xf bank_mask:0xf// 000000005D60: 0AAAAAFA FF015118
	v_mul_f32_dpp v86, v24, v86 row_newbcast:2 row_mask:0xf bank_mask:0xf// 000000005D68: 0AACACFA FF015218
	v_mul_f32_dpp v87, v24, v87 row_newbcast:3 row_mask:0xf bank_mask:0xf// 000000005D70: 0AAEAEFA FF015318
	v_cvt_f32_i32_e32 v88, v88                                 // 000000005D78: 7EB00B58
	v_cvt_f32_i32_e32 v89, v89                                 // 000000005D7C: 7EB20B59
	v_cvt_f32_i32_e32 v90, v90                                 // 000000005D80: 7EB40B5A
	v_cvt_f32_i32_e32 v91, v91                                 // 000000005D84: 7EB60B5B
	v_mul_f32_dpp v88, v24, v88 row_newbcast:0 row_mask:0xf bank_mask:0xf// 000000005D88: 0AB0B0FA FF015018
	v_mul_f32_dpp v89, v24, v89 row_newbcast:1 row_mask:0xf bank_mask:0xf// 000000005D90: 0AB2B2FA FF015118
	v_mul_f32_dpp v90, v24, v90 row_newbcast:2 row_mask:0xf bank_mask:0xf// 000000005D98: 0AB4B4FA FF015218
	v_mul_f32_dpp v91, v24, v91 row_newbcast:3 row_mask:0xf bank_mask:0xf// 000000005DA0: 0AB6B6FA FF015318
	v_cvt_f32_i32_e32 v92, v92                                 // 000000005DA8: 7EB80B5C
	v_cvt_f32_i32_e32 v93, v93                                 // 000000005DAC: 7EBA0B5D
	v_cvt_f32_i32_e32 v94, v94                                 // 000000005DB0: 7EBC0B5E
	v_cvt_f32_i32_e32 v95, v95                                 // 000000005DB4: 7EBE0B5F
	v_mul_f32_dpp v92, v24, v92 row_newbcast:0 row_mask:0xf bank_mask:0xf// 000000005DB8: 0AB8B8FA FF015018
	v_mul_f32_dpp v93, v24, v93 row_newbcast:1 row_mask:0xf bank_mask:0xf// 000000005DC0: 0ABABAFA FF015118
	v_mul_f32_dpp v94, v24, v94 row_newbcast:2 row_mask:0xf bank_mask:0xf// 000000005DC8: 0ABCBCFA FF015218
	v_mul_f32_dpp v95, v24, v95 row_newbcast:3 row_mask:0xf bank_mask:0xf// 000000005DD0: 0ABEBEFA FF015318
	v_cvt_f32_i32_e32 v96, v96                                 // 000000005DD8: 7EC00B60
	v_cvt_f32_i32_e32 v97, v97                                 // 000000005DDC: 7EC20B61
	v_cvt_f32_i32_e32 v98, v98                                 // 000000005DE0: 7EC40B62
	v_cvt_f32_i32_e32 v99, v99                                 // 000000005DE4: 7EC60B63
	v_mul_f32_dpp v96, v24, v96 row_newbcast:0 row_mask:0xf bank_mask:0xf// 000000005DE8: 0AC0C0FA FF015018
	v_mul_f32_dpp v97, v24, v97 row_newbcast:1 row_mask:0xf bank_mask:0xf// 000000005DF0: 0AC2C2FA FF015118
	v_mul_f32_dpp v98, v24, v98 row_newbcast:2 row_mask:0xf bank_mask:0xf// 000000005DF8: 0AC4C4FA FF015218
	v_mul_f32_dpp v99, v24, v99 row_newbcast:3 row_mask:0xf bank_mask:0xf// 000000005E00: 0AC6C6FA FF015318
	v_cvt_f32_i32_e32 v100, v100                               // 000000005E08: 7EC80B64
	v_cvt_f32_i32_e32 v101, v101                               // 000000005E0C: 7ECA0B65
	v_cvt_f32_i32_e32 v102, v102                               // 000000005E10: 7ECC0B66
	v_cvt_f32_i32_e32 v103, v103                               // 000000005E14: 7ECE0B67
	v_mul_f32_dpp v100, v24, v100 row_newbcast:0 row_mask:0xf bank_mask:0xf// 000000005E18: 0AC8C8FA FF015018
	v_mul_f32_dpp v101, v24, v101 row_newbcast:1 row_mask:0xf bank_mask:0xf// 000000005E20: 0ACACAFA FF015118
	v_mul_f32_dpp v102, v24, v102 row_newbcast:2 row_mask:0xf bank_mask:0xf// 000000005E28: 0ACCCCFA FF015218
	v_mul_f32_dpp v103, v24, v103 row_newbcast:3 row_mask:0xf bank_mask:0xf// 000000005E30: 0ACECEFA FF015318
	v_cvt_f32_i32_e32 v104, v104                               // 000000005E38: 7ED00B68
	v_cvt_f32_i32_e32 v105, v105                               // 000000005E3C: 7ED20B69
	v_cvt_f32_i32_e32 v106, v106                               // 000000005E40: 7ED40B6A
	v_cvt_f32_i32_e32 v107, v107                               // 000000005E44: 7ED60B6B
	v_mul_f32_dpp v104, v24, v104 row_newbcast:0 row_mask:0xf bank_mask:0xf// 000000005E48: 0AD0D0FA FF015018
	v_mul_f32_dpp v105, v24, v105 row_newbcast:1 row_mask:0xf bank_mask:0xf// 000000005E50: 0AD2D2FA FF015118
	v_mul_f32_dpp v106, v24, v106 row_newbcast:2 row_mask:0xf bank_mask:0xf// 000000005E58: 0AD4D4FA FF015218
	v_mul_f32_dpp v107, v24, v107 row_newbcast:3 row_mask:0xf bank_mask:0xf// 000000005E60: 0AD6D6FA FF015318
	v_cvt_f32_i32_e32 v108, v108                               // 000000005E68: 7ED80B6C
	v_cvt_f32_i32_e32 v109, v109                               // 000000005E6C: 7EDA0B6D
	v_cvt_f32_i32_e32 v110, v110                               // 000000005E70: 7EDC0B6E
	v_cvt_f32_i32_e32 v111, v111                               // 000000005E74: 7EDE0B6F
	v_mul_f32_dpp v108, v24, v108 row_newbcast:0 row_mask:0xf bank_mask:0xf// 000000005E78: 0AD8D8FA FF015018
	v_mul_f32_dpp v109, v24, v109 row_newbcast:1 row_mask:0xf bank_mask:0xf// 000000005E80: 0ADADAFA FF015118
	v_mul_f32_dpp v110, v24, v110 row_newbcast:2 row_mask:0xf bank_mask:0xf// 000000005E88: 0ADCDCFA FF015218
	v_mul_f32_dpp v111, v24, v111 row_newbcast:3 row_mask:0xf bank_mask:0xf// 000000005E90: 0ADEDEFA FF015318
	v_cvt_f32_i32_e32 v112, v112                               // 000000005E98: 7EE00B70
	v_cvt_f32_i32_e32 v113, v113                               // 000000005E9C: 7EE20B71
	v_cvt_f32_i32_e32 v114, v114                               // 000000005EA0: 7EE40B72
	v_cvt_f32_i32_e32 v115, v115                               // 000000005EA4: 7EE60B73
	v_mul_f32_dpp v112, v24, v112 row_newbcast:4 row_mask:0xf bank_mask:0xf// 000000005EA8: 0AE0E0FA FF015418
	v_mul_f32_dpp v113, v24, v113 row_newbcast:5 row_mask:0xf bank_mask:0xf// 000000005EB0: 0AE2E2FA FF015518
	v_mul_f32_dpp v114, v24, v114 row_newbcast:6 row_mask:0xf bank_mask:0xf// 000000005EB8: 0AE4E4FA FF015618
	v_mul_f32_dpp v115, v24, v115 row_newbcast:7 row_mask:0xf bank_mask:0xf// 000000005EC0: 0AE6E6FA FF015718
	v_cvt_f32_i32_e32 v116, v116                               // 000000005EC8: 7EE80B74
	v_cvt_f32_i32_e32 v117, v117                               // 000000005ECC: 7EEA0B75
	v_cvt_f32_i32_e32 v118, v118                               // 000000005ED0: 7EEC0B76
	v_cvt_f32_i32_e32 v119, v119                               // 000000005ED4: 7EEE0B77
	v_mul_f32_dpp v116, v24, v116 row_newbcast:4 row_mask:0xf bank_mask:0xf// 000000005ED8: 0AE8E8FA FF015418
	v_mul_f32_dpp v117, v24, v117 row_newbcast:5 row_mask:0xf bank_mask:0xf// 000000005EE0: 0AEAEAFA FF015518
	v_mul_f32_dpp v118, v24, v118 row_newbcast:6 row_mask:0xf bank_mask:0xf// 000000005EE8: 0AECECFA FF015618
	v_mul_f32_dpp v119, v24, v119 row_newbcast:7 row_mask:0xf bank_mask:0xf// 000000005EF0: 0AEEEEFA FF015718
	v_cvt_f32_i32_e32 v120, v120                               // 000000005EF8: 7EF00B78
	v_cvt_f32_i32_e32 v121, v121                               // 000000005EFC: 7EF20B79
	v_cvt_f32_i32_e32 v122, v122                               // 000000005F00: 7EF40B7A
	v_cvt_f32_i32_e32 v123, v123                               // 000000005F04: 7EF60B7B
	v_mul_f32_dpp v120, v24, v120 row_newbcast:4 row_mask:0xf bank_mask:0xf// 000000005F08: 0AF0F0FA FF015418
	v_mul_f32_dpp v121, v24, v121 row_newbcast:5 row_mask:0xf bank_mask:0xf// 000000005F10: 0AF2F2FA FF015518
	v_mul_f32_dpp v122, v24, v122 row_newbcast:6 row_mask:0xf bank_mask:0xf// 000000005F18: 0AF4F4FA FF015618
	v_mul_f32_dpp v123, v24, v123 row_newbcast:7 row_mask:0xf bank_mask:0xf// 000000005F20: 0AF6F6FA FF015718
	v_cvt_f32_i32_e32 v124, v124                               // 000000005F28: 7EF80B7C
	v_cvt_f32_i32_e32 v125, v125                               // 000000005F2C: 7EFA0B7D
	v_cvt_f32_i32_e32 v126, v126                               // 000000005F30: 7EFC0B7E
	v_cvt_f32_i32_e32 v127, v127                               // 000000005F34: 7EFE0B7F
	v_mul_f32_dpp v124, v24, v124 row_newbcast:4 row_mask:0xf bank_mask:0xf// 000000005F38: 0AF8F8FA FF015418
	v_mul_f32_dpp v125, v24, v125 row_newbcast:5 row_mask:0xf bank_mask:0xf// 000000005F40: 0AFAFAFA FF015518
	v_mul_f32_dpp v126, v24, v126 row_newbcast:6 row_mask:0xf bank_mask:0xf// 000000005F48: 0AFCFCFA FF015618
	v_mul_f32_dpp v127, v24, v127 row_newbcast:7 row_mask:0xf bank_mask:0xf// 000000005F50: 0AFEFEFA FF015718
	v_cvt_f32_i32_e32 v128, v128                               // 000000005F58: 7F000B80
	v_cvt_f32_i32_e32 v129, v129                               // 000000005F5C: 7F020B81
	v_cvt_f32_i32_e32 v130, v130                               // 000000005F60: 7F040B82
	v_cvt_f32_i32_e32 v131, v131                               // 000000005F64: 7F060B83
	v_mul_f32_dpp v128, v24, v128 row_newbcast:4 row_mask:0xf bank_mask:0xf// 000000005F68: 0B0100FA FF015418
	v_mul_f32_dpp v129, v24, v129 row_newbcast:5 row_mask:0xf bank_mask:0xf// 000000005F70: 0B0302FA FF015518
	v_mul_f32_dpp v130, v24, v130 row_newbcast:6 row_mask:0xf bank_mask:0xf// 000000005F78: 0B0504FA FF015618
	v_mul_f32_dpp v131, v24, v131 row_newbcast:7 row_mask:0xf bank_mask:0xf// 000000005F80: 0B0706FA FF015718
	v_cvt_f32_i32_e32 v132, v132                               // 000000005F88: 7F080B84
	v_cvt_f32_i32_e32 v133, v133                               // 000000005F8C: 7F0A0B85
	v_cvt_f32_i32_e32 v134, v134                               // 000000005F90: 7F0C0B86
	v_cvt_f32_i32_e32 v135, v135                               // 000000005F94: 7F0E0B87
	v_mul_f32_dpp v132, v24, v132 row_newbcast:4 row_mask:0xf bank_mask:0xf// 000000005F98: 0B0908FA FF015418
	v_mul_f32_dpp v133, v24, v133 row_newbcast:5 row_mask:0xf bank_mask:0xf// 000000005FA0: 0B0B0AFA FF015518
	v_mul_f32_dpp v134, v24, v134 row_newbcast:6 row_mask:0xf bank_mask:0xf// 000000005FA8: 0B0D0CFA FF015618
	v_mul_f32_dpp v135, v24, v135 row_newbcast:7 row_mask:0xf bank_mask:0xf// 000000005FB0: 0B0F0EFA FF015718
	v_cvt_f32_i32_e32 v136, v136                               // 000000005FB8: 7F100B88
	v_cvt_f32_i32_e32 v137, v137                               // 000000005FBC: 7F120B89
	v_cvt_f32_i32_e32 v138, v138                               // 000000005FC0: 7F140B8A
	v_cvt_f32_i32_e32 v139, v139                               // 000000005FC4: 7F160B8B
	v_mul_f32_dpp v136, v24, v136 row_newbcast:4 row_mask:0xf bank_mask:0xf// 000000005FC8: 0B1110FA FF015418
	v_mul_f32_dpp v137, v24, v137 row_newbcast:5 row_mask:0xf bank_mask:0xf// 000000005FD0: 0B1312FA FF015518
	v_mul_f32_dpp v138, v24, v138 row_newbcast:6 row_mask:0xf bank_mask:0xf// 000000005FD8: 0B1514FA FF015618
	v_mul_f32_dpp v139, v24, v139 row_newbcast:7 row_mask:0xf bank_mask:0xf// 000000005FE0: 0B1716FA FF015718
	v_cvt_f32_i32_e32 v140, v140                               // 000000005FE8: 7F180B8C
	v_cvt_f32_i32_e32 v141, v141                               // 000000005FEC: 7F1A0B8D
	v_cvt_f32_i32_e32 v142, v142                               // 000000005FF0: 7F1C0B8E
	v_cvt_f32_i32_e32 v143, v143                               // 000000005FF4: 7F1E0B8F
	v_mul_f32_dpp v140, v24, v140 row_newbcast:4 row_mask:0xf bank_mask:0xf// 000000005FF8: 0B1918FA FF015418
	v_mul_f32_dpp v141, v24, v141 row_newbcast:5 row_mask:0xf bank_mask:0xf// 000000006000: 0B1B1AFA FF015518
	v_mul_f32_dpp v142, v24, v142 row_newbcast:6 row_mask:0xf bank_mask:0xf// 000000006008: 0B1D1CFA FF015618
	v_mul_f32_dpp v143, v24, v143 row_newbcast:7 row_mask:0xf bank_mask:0xf// 000000006010: 0B1F1EFA FF015718
	v_cvt_f32_i32_e32 v144, v144                               // 000000006018: 7F200B90
	v_cvt_f32_i32_e32 v145, v145                               // 00000000601C: 7F220B91
	v_cvt_f32_i32_e32 v146, v146                               // 000000006020: 7F240B92
	v_cvt_f32_i32_e32 v147, v147                               // 000000006024: 7F260B93
	v_mul_f32_dpp v144, v27, v144 row_newbcast:0 row_mask:0xf bank_mask:0xf// 000000006028: 0B2120FA FF01501B
	v_mul_f32_dpp v145, v27, v145 row_newbcast:1 row_mask:0xf bank_mask:0xf// 000000006030: 0B2322FA FF01511B
	v_mul_f32_dpp v146, v27, v146 row_newbcast:2 row_mask:0xf bank_mask:0xf// 000000006038: 0B2524FA FF01521B
	v_mul_f32_dpp v147, v27, v147 row_newbcast:3 row_mask:0xf bank_mask:0xf// 000000006040: 0B2726FA FF01531B
	v_cvt_f32_i32_e32 v148, v148                               // 000000006048: 7F280B94
	v_cvt_f32_i32_e32 v149, v149                               // 00000000604C: 7F2A0B95
	v_cvt_f32_i32_e32 v150, v150                               // 000000006050: 7F2C0B96
	v_cvt_f32_i32_e32 v151, v151                               // 000000006054: 7F2E0B97
	v_mul_f32_dpp v148, v27, v148 row_newbcast:0 row_mask:0xf bank_mask:0xf// 000000006058: 0B2928FA FF01501B
	v_mul_f32_dpp v149, v27, v149 row_newbcast:1 row_mask:0xf bank_mask:0xf// 000000006060: 0B2B2AFA FF01511B
	v_mul_f32_dpp v150, v27, v150 row_newbcast:2 row_mask:0xf bank_mask:0xf// 000000006068: 0B2D2CFA FF01521B
	v_mul_f32_dpp v151, v27, v151 row_newbcast:3 row_mask:0xf bank_mask:0xf// 000000006070: 0B2F2EFA FF01531B
	v_cvt_f32_i32_e32 v152, v152                               // 000000006078: 7F300B98
	v_cvt_f32_i32_e32 v153, v153                               // 00000000607C: 7F320B99
	v_cvt_f32_i32_e32 v154, v154                               // 000000006080: 7F340B9A
	v_cvt_f32_i32_e32 v155, v155                               // 000000006084: 7F360B9B
	v_mul_f32_dpp v152, v27, v152 row_newbcast:0 row_mask:0xf bank_mask:0xf// 000000006088: 0B3130FA FF01501B
	v_mul_f32_dpp v153, v27, v153 row_newbcast:1 row_mask:0xf bank_mask:0xf// 000000006090: 0B3332FA FF01511B
	v_mul_f32_dpp v154, v27, v154 row_newbcast:2 row_mask:0xf bank_mask:0xf// 000000006098: 0B3534FA FF01521B
	v_mul_f32_dpp v155, v27, v155 row_newbcast:3 row_mask:0xf bank_mask:0xf// 0000000060A0: 0B3736FA FF01531B
	v_cvt_f32_i32_e32 v156, v156                               // 0000000060A8: 7F380B9C
	v_cvt_f32_i32_e32 v157, v157                               // 0000000060AC: 7F3A0B9D
	v_cvt_f32_i32_e32 v158, v158                               // 0000000060B0: 7F3C0B9E
	v_cvt_f32_i32_e32 v159, v159                               // 0000000060B4: 7F3E0B9F
	v_mul_f32_dpp v156, v27, v156 row_newbcast:0 row_mask:0xf bank_mask:0xf// 0000000060B8: 0B3938FA FF01501B
	v_mul_f32_dpp v157, v27, v157 row_newbcast:1 row_mask:0xf bank_mask:0xf// 0000000060C0: 0B3B3AFA FF01511B
	v_mul_f32_dpp v158, v27, v158 row_newbcast:2 row_mask:0xf bank_mask:0xf// 0000000060C8: 0B3D3CFA FF01521B
	v_mul_f32_dpp v159, v27, v159 row_newbcast:3 row_mask:0xf bank_mask:0xf// 0000000060D0: 0B3F3EFA FF01531B
	v_cvt_f32_i32_e32 v160, v160                               // 0000000060D8: 7F400BA0
	v_cvt_f32_i32_e32 v161, v161                               // 0000000060DC: 7F420BA1
	v_cvt_f32_i32_e32 v162, v162                               // 0000000060E0: 7F440BA2
	v_cvt_f32_i32_e32 v163, v163                               // 0000000060E4: 7F460BA3
	v_mul_f32_dpp v160, v27, v160 row_newbcast:0 row_mask:0xf bank_mask:0xf// 0000000060E8: 0B4140FA FF01501B
	v_mul_f32_dpp v161, v27, v161 row_newbcast:1 row_mask:0xf bank_mask:0xf// 0000000060F0: 0B4342FA FF01511B
	v_mul_f32_dpp v162, v27, v162 row_newbcast:2 row_mask:0xf bank_mask:0xf// 0000000060F8: 0B4544FA FF01521B
	v_mul_f32_dpp v163, v27, v163 row_newbcast:3 row_mask:0xf bank_mask:0xf// 000000006100: 0B4746FA FF01531B
	v_cvt_f32_i32_e32 v164, v164                               // 000000006108: 7F480BA4
	v_cvt_f32_i32_e32 v165, v165                               // 00000000610C: 7F4A0BA5
	v_cvt_f32_i32_e32 v166, v166                               // 000000006110: 7F4C0BA6
	v_cvt_f32_i32_e32 v167, v167                               // 000000006114: 7F4E0BA7
	v_mul_f32_dpp v164, v27, v164 row_newbcast:0 row_mask:0xf bank_mask:0xf// 000000006118: 0B4948FA FF01501B
	v_mul_f32_dpp v165, v27, v165 row_newbcast:1 row_mask:0xf bank_mask:0xf// 000000006120: 0B4B4AFA FF01511B
	v_mul_f32_dpp v166, v27, v166 row_newbcast:2 row_mask:0xf bank_mask:0xf// 000000006128: 0B4D4CFA FF01521B
	v_mul_f32_dpp v167, v27, v167 row_newbcast:3 row_mask:0xf bank_mask:0xf// 000000006130: 0B4F4EFA FF01531B
	v_cvt_f32_i32_e32 v168, v168                               // 000000006138: 7F500BA8
	v_cvt_f32_i32_e32 v169, v169                               // 00000000613C: 7F520BA9
	v_cvt_f32_i32_e32 v170, v170                               // 000000006140: 7F540BAA
	v_cvt_f32_i32_e32 v171, v171                               // 000000006144: 7F560BAB
	v_mul_f32_dpp v168, v27, v168 row_newbcast:0 row_mask:0xf bank_mask:0xf// 000000006148: 0B5150FA FF01501B
	v_mul_f32_dpp v169, v27, v169 row_newbcast:1 row_mask:0xf bank_mask:0xf// 000000006150: 0B5352FA FF01511B
	v_mul_f32_dpp v170, v27, v170 row_newbcast:2 row_mask:0xf bank_mask:0xf// 000000006158: 0B5554FA FF01521B
	v_mul_f32_dpp v171, v27, v171 row_newbcast:3 row_mask:0xf bank_mask:0xf// 000000006160: 0B5756FA FF01531B
	v_cvt_f32_i32_e32 v172, v172                               // 000000006168: 7F580BAC
	v_cvt_f32_i32_e32 v173, v173                               // 00000000616C: 7F5A0BAD
	v_cvt_f32_i32_e32 v174, v174                               // 000000006170: 7F5C0BAE
	v_cvt_f32_i32_e32 v175, v175                               // 000000006174: 7F5E0BAF
	v_mul_f32_dpp v172, v27, v172 row_newbcast:0 row_mask:0xf bank_mask:0xf// 000000006178: 0B5958FA FF01501B
	v_mul_f32_dpp v173, v27, v173 row_newbcast:1 row_mask:0xf bank_mask:0xf// 000000006180: 0B5B5AFA FF01511B
	v_mul_f32_dpp v174, v27, v174 row_newbcast:2 row_mask:0xf bank_mask:0xf// 000000006188: 0B5D5CFA FF01521B
	v_mul_f32_dpp v175, v27, v175 row_newbcast:3 row_mask:0xf bank_mask:0xf// 000000006190: 0B5F5EFA FF01531B
	v_cvt_f32_i32_e32 v176, v176                               // 000000006198: 7F600BB0
	v_cvt_f32_i32_e32 v177, v177                               // 00000000619C: 7F620BB1
	v_cvt_f32_i32_e32 v178, v178                               // 0000000061A0: 7F640BB2
	v_cvt_f32_i32_e32 v179, v179                               // 0000000061A4: 7F660BB3
	v_mul_f32_dpp v176, v27, v176 row_newbcast:4 row_mask:0xf bank_mask:0xf// 0000000061A8: 0B6160FA FF01541B
	v_mul_f32_dpp v177, v27, v177 row_newbcast:5 row_mask:0xf bank_mask:0xf// 0000000061B0: 0B6362FA FF01551B
	v_mul_f32_dpp v178, v27, v178 row_newbcast:6 row_mask:0xf bank_mask:0xf// 0000000061B8: 0B6564FA FF01561B
	v_mul_f32_dpp v179, v27, v179 row_newbcast:7 row_mask:0xf bank_mask:0xf// 0000000061C0: 0B6766FA FF01571B
	v_cvt_f32_i32_e32 v180, v180                               // 0000000061C8: 7F680BB4
	v_cvt_f32_i32_e32 v181, v181                               // 0000000061CC: 7F6A0BB5
	v_cvt_f32_i32_e32 v182, v182                               // 0000000061D0: 7F6C0BB6
	v_cvt_f32_i32_e32 v183, v183                               // 0000000061D4: 7F6E0BB7
	v_mul_f32_dpp v180, v27, v180 row_newbcast:4 row_mask:0xf bank_mask:0xf// 0000000061D8: 0B6968FA FF01541B
	v_mul_f32_dpp v181, v27, v181 row_newbcast:5 row_mask:0xf bank_mask:0xf// 0000000061E0: 0B6B6AFA FF01551B
	v_mul_f32_dpp v182, v27, v182 row_newbcast:6 row_mask:0xf bank_mask:0xf// 0000000061E8: 0B6D6CFA FF01561B
	v_mul_f32_dpp v183, v27, v183 row_newbcast:7 row_mask:0xf bank_mask:0xf// 0000000061F0: 0B6F6EFA FF01571B
	v_cvt_f32_i32_e32 v184, v184                               // 0000000061F8: 7F700BB8
	v_cvt_f32_i32_e32 v185, v185                               // 0000000061FC: 7F720BB9
	v_cvt_f32_i32_e32 v186, v186                               // 000000006200: 7F740BBA
	v_cvt_f32_i32_e32 v187, v187                               // 000000006204: 7F760BBB
	v_mul_f32_dpp v184, v27, v184 row_newbcast:4 row_mask:0xf bank_mask:0xf// 000000006208: 0B7170FA FF01541B
	v_mul_f32_dpp v185, v27, v185 row_newbcast:5 row_mask:0xf bank_mask:0xf// 000000006210: 0B7372FA FF01551B
	v_mul_f32_dpp v186, v27, v186 row_newbcast:6 row_mask:0xf bank_mask:0xf// 000000006218: 0B7574FA FF01561B
	v_mul_f32_dpp v187, v27, v187 row_newbcast:7 row_mask:0xf bank_mask:0xf// 000000006220: 0B7776FA FF01571B
	v_cvt_f32_i32_e32 v188, v188                               // 000000006228: 7F780BBC
	v_cvt_f32_i32_e32 v189, v189                               // 00000000622C: 7F7A0BBD
	v_cvt_f32_i32_e32 v190, v190                               // 000000006230: 7F7C0BBE
	v_cvt_f32_i32_e32 v191, v191                               // 000000006234: 7F7E0BBF
	v_mul_f32_dpp v188, v27, v188 row_newbcast:4 row_mask:0xf bank_mask:0xf// 000000006238: 0B7978FA FF01541B
	v_mul_f32_dpp v189, v27, v189 row_newbcast:5 row_mask:0xf bank_mask:0xf// 000000006240: 0B7B7AFA FF01551B
	v_mul_f32_dpp v190, v27, v190 row_newbcast:6 row_mask:0xf bank_mask:0xf// 000000006248: 0B7D7CFA FF01561B
	v_mul_f32_dpp v191, v27, v191 row_newbcast:7 row_mask:0xf bank_mask:0xf// 000000006250: 0B7F7EFA FF01571B
	v_cvt_f32_i32_e32 v192, v192                               // 000000006258: 7F800BC0
	v_cvt_f32_i32_e32 v193, v193                               // 00000000625C: 7F820BC1
	v_cvt_f32_i32_e32 v194, v194                               // 000000006260: 7F840BC2
	v_cvt_f32_i32_e32 v195, v195                               // 000000006264: 7F860BC3
	v_mul_f32_dpp v192, v27, v192 row_newbcast:4 row_mask:0xf bank_mask:0xf// 000000006268: 0B8180FA FF01541B
	v_mul_f32_dpp v193, v27, v193 row_newbcast:5 row_mask:0xf bank_mask:0xf// 000000006270: 0B8382FA FF01551B
	v_mul_f32_dpp v194, v27, v194 row_newbcast:6 row_mask:0xf bank_mask:0xf// 000000006278: 0B8584FA FF01561B
	v_mul_f32_dpp v195, v27, v195 row_newbcast:7 row_mask:0xf bank_mask:0xf// 000000006280: 0B8786FA FF01571B
	v_cvt_f32_i32_e32 v196, v196                               // 000000006288: 7F880BC4
	v_cvt_f32_i32_e32 v197, v197                               // 00000000628C: 7F8A0BC5
	v_cvt_f32_i32_e32 v198, v198                               // 000000006290: 7F8C0BC6
	v_cvt_f32_i32_e32 v199, v199                               // 000000006294: 7F8E0BC7
	v_mul_f32_dpp v196, v27, v196 row_newbcast:4 row_mask:0xf bank_mask:0xf// 000000006298: 0B8988FA FF01541B
	v_mul_f32_dpp v197, v27, v197 row_newbcast:5 row_mask:0xf bank_mask:0xf// 0000000062A0: 0B8B8AFA FF01551B
	v_mul_f32_dpp v198, v27, v198 row_newbcast:6 row_mask:0xf bank_mask:0xf// 0000000062A8: 0B8D8CFA FF01561B
	v_mul_f32_dpp v199, v27, v199 row_newbcast:7 row_mask:0xf bank_mask:0xf// 0000000062B0: 0B8F8EFA FF01571B
	v_cvt_f32_i32_e32 v200, v200                               // 0000000062B8: 7F900BC8
	v_cvt_f32_i32_e32 v201, v201                               // 0000000062BC: 7F920BC9
	v_cvt_f32_i32_e32 v202, v202                               // 0000000062C0: 7F940BCA
	v_cvt_f32_i32_e32 v203, v203                               // 0000000062C4: 7F960BCB
	v_mul_f32_dpp v200, v27, v200 row_newbcast:4 row_mask:0xf bank_mask:0xf// 0000000062C8: 0B9190FA FF01541B
	v_mul_f32_dpp v201, v27, v201 row_newbcast:5 row_mask:0xf bank_mask:0xf// 0000000062D0: 0B9392FA FF01551B
	v_mul_f32_dpp v202, v27, v202 row_newbcast:6 row_mask:0xf bank_mask:0xf// 0000000062D8: 0B9594FA FF01561B
	v_mul_f32_dpp v203, v27, v203 row_newbcast:7 row_mask:0xf bank_mask:0xf// 0000000062E0: 0B9796FA FF01571B
	v_cvt_f32_i32_e32 v204, v204                               // 0000000062E8: 7F980BCC
	v_cvt_f32_i32_e32 v205, v205                               // 0000000062EC: 7F9A0BCD
	v_cvt_f32_i32_e32 v206, v206                               // 0000000062F0: 7F9C0BCE
	v_cvt_f32_i32_e32 v207, v207                               // 0000000062F4: 7F9E0BCF
	v_mul_f32_dpp v204, v27, v204 row_newbcast:4 row_mask:0xf bank_mask:0xf// 0000000062F8: 0B9998FA FF01541B
	v_mul_f32_dpp v205, v27, v205 row_newbcast:5 row_mask:0xf bank_mask:0xf// 000000006300: 0B9B9AFA FF01551B
	v_mul_f32_dpp v206, v27, v206 row_newbcast:6 row_mask:0xf bank_mask:0xf// 000000006308: 0B9D9CFA FF01561B
	v_mul_f32_dpp v207, v27, v207 row_newbcast:7 row_mask:0xf bank_mask:0xf// 000000006310: 0B9F9EFA FF01571B
	v_mov_b32_e32 v4, v38                                      // 000000006318: 7E080326
	v_mov_b32_e32 v5, v4                                       // 00000000631C: 7E0A0304
	v_pk_mul_f32 v[80:81], v[4:5], v[80:81]                    // 000000006320: D3B14050 1802A104
	v_pk_mul_f32 v[144:145], v[4:5], v[144:145]                // 000000006328: D3B14090 18032104
	v_pk_mul_f32 v[82:83], v[4:5], v[82:83]                    // 000000006330: D3B14052 1802A504
	v_pk_mul_f32 v[146:147], v[4:5], v[146:147]                // 000000006338: D3B14092 18032504
	v_pk_mul_f32 v[112:113], v[4:5], v[112:113]                // 000000006340: D3B14070 1802E104
	v_pk_mul_f32 v[176:177], v[4:5], v[176:177]                // 000000006348: D3B140B0 18036104
	v_pk_mul_f32 v[114:115], v[4:5], v[114:115]                // 000000006350: D3B14072 1802E504
	v_pk_mul_f32 v[178:179], v[4:5], v[178:179]                // 000000006358: D3B140B2 18036504
	v_mov_b32_e32 v4, v39                                      // 000000006360: 7E080327
	v_mov_b32_e32 v5, v4                                       // 000000006364: 7E0A0304
	v_pk_mul_f32 v[84:85], v[4:5], v[84:85]                    // 000000006368: D3B14054 1802A904
	v_pk_mul_f32 v[148:149], v[4:5], v[148:149]                // 000000006370: D3B14094 18032904
	v_pk_mul_f32 v[86:87], v[4:5], v[86:87]                    // 000000006378: D3B14056 1802AD04
	v_pk_mul_f32 v[150:151], v[4:5], v[150:151]                // 000000006380: D3B14096 18032D04
	v_pk_mul_f32 v[116:117], v[4:5], v[116:117]                // 000000006388: D3B14074 1802E904
	v_pk_mul_f32 v[180:181], v[4:5], v[180:181]                // 000000006390: D3B140B4 18036904
	v_pk_mul_f32 v[118:119], v[4:5], v[118:119]                // 000000006398: D3B14076 1802ED04
	v_pk_mul_f32 v[182:183], v[4:5], v[182:183]                // 0000000063A0: D3B140B6 18036D04
	v_mov_b32_e32 v4, v40                                      // 0000000063A8: 7E080328
	v_mov_b32_e32 v5, v4                                       // 0000000063AC: 7E0A0304
	v_pk_mul_f32 v[88:89], v[4:5], v[88:89]                    // 0000000063B0: D3B14058 1802B104
	v_pk_mul_f32 v[152:153], v[4:5], v[152:153]                // 0000000063B8: D3B14098 18033104
	v_pk_mul_f32 v[90:91], v[4:5], v[90:91]                    // 0000000063C0: D3B1405A 1802B504
	v_pk_mul_f32 v[154:155], v[4:5], v[154:155]                // 0000000063C8: D3B1409A 18033504
	v_pk_mul_f32 v[120:121], v[4:5], v[120:121]                // 0000000063D0: D3B14078 1802F104
	v_pk_mul_f32 v[184:185], v[4:5], v[184:185]                // 0000000063D8: D3B140B8 18037104
	v_pk_mul_f32 v[122:123], v[4:5], v[122:123]                // 0000000063E0: D3B1407A 1802F504
	v_pk_mul_f32 v[186:187], v[4:5], v[186:187]                // 0000000063E8: D3B140BA 18037504
	v_mov_b32_e32 v4, v41                                      // 0000000063F0: 7E080329
	v_mov_b32_e32 v5, v4                                       // 0000000063F4: 7E0A0304
	v_pk_mul_f32 v[92:93], v[4:5], v[92:93]                    // 0000000063F8: D3B1405C 1802B904
	v_pk_mul_f32 v[156:157], v[4:5], v[156:157]                // 000000006400: D3B1409C 18033904
	v_pk_mul_f32 v[94:95], v[4:5], v[94:95]                    // 000000006408: D3B1405E 1802BD04
	v_pk_mul_f32 v[158:159], v[4:5], v[158:159]                // 000000006410: D3B1409E 18033D04
	v_pk_mul_f32 v[124:125], v[4:5], v[124:125]                // 000000006418: D3B1407C 1802F904
	v_pk_mul_f32 v[188:189], v[4:5], v[188:189]                // 000000006420: D3B140BC 18037904
	v_pk_mul_f32 v[126:127], v[4:5], v[126:127]                // 000000006428: D3B1407E 1802FD04
	v_pk_mul_f32 v[190:191], v[4:5], v[190:191]                // 000000006430: D3B140BE 18037D04
	v_mov_b32_e32 v4, v42                                      // 000000006438: 7E08032A
	v_mov_b32_e32 v5, v4                                       // 00000000643C: 7E0A0304
	v_pk_mul_f32 v[96:97], v[4:5], v[96:97]                    // 000000006440: D3B14060 1802C104
	v_pk_mul_f32 v[160:161], v[4:5], v[160:161]                // 000000006448: D3B140A0 18034104
	v_pk_mul_f32 v[98:99], v[4:5], v[98:99]                    // 000000006450: D3B14062 1802C504
	v_pk_mul_f32 v[162:163], v[4:5], v[162:163]                // 000000006458: D3B140A2 18034504
	v_pk_mul_f32 v[128:129], v[4:5], v[128:129]                // 000000006460: D3B14080 18030104
	v_pk_mul_f32 v[192:193], v[4:5], v[192:193]                // 000000006468: D3B140C0 18038104
	v_pk_mul_f32 v[130:131], v[4:5], v[130:131]                // 000000006470: D3B14082 18030504
	v_pk_mul_f32 v[194:195], v[4:5], v[194:195]                // 000000006478: D3B140C2 18038504
	v_mov_b32_e32 v4, v43                                      // 000000006480: 7E08032B
	v_mov_b32_e32 v5, v4                                       // 000000006484: 7E0A0304
	v_pk_mul_f32 v[100:101], v[4:5], v[100:101]                // 000000006488: D3B14064 1802C904
	v_pk_mul_f32 v[164:165], v[4:5], v[164:165]                // 000000006490: D3B140A4 18034904
	v_pk_mul_f32 v[102:103], v[4:5], v[102:103]                // 000000006498: D3B14066 1802CD04
	v_pk_mul_f32 v[166:167], v[4:5], v[166:167]                // 0000000064A0: D3B140A6 18034D04
	v_pk_mul_f32 v[132:133], v[4:5], v[132:133]                // 0000000064A8: D3B14084 18030904
	v_pk_mul_f32 v[196:197], v[4:5], v[196:197]                // 0000000064B0: D3B140C4 18038904
	v_pk_mul_f32 v[134:135], v[4:5], v[134:135]                // 0000000064B8: D3B14086 18030D04
	v_pk_mul_f32 v[198:199], v[4:5], v[198:199]                // 0000000064C0: D3B140C6 18038D04
	v_mov_b32_e32 v4, v44                                      // 0000000064C8: 7E08032C
	v_mov_b32_e32 v5, v4                                       // 0000000064CC: 7E0A0304
	v_pk_mul_f32 v[104:105], v[4:5], v[104:105]                // 0000000064D0: D3B14068 1802D104
	v_pk_mul_f32 v[168:169], v[4:5], v[168:169]                // 0000000064D8: D3B140A8 18035104
	v_pk_mul_f32 v[106:107], v[4:5], v[106:107]                // 0000000064E0: D3B1406A 1802D504
	v_pk_mul_f32 v[170:171], v[4:5], v[170:171]                // 0000000064E8: D3B140AA 18035504
	v_pk_mul_f32 v[136:137], v[4:5], v[136:137]                // 0000000064F0: D3B14088 18031104
	v_pk_mul_f32 v[200:201], v[4:5], v[200:201]                // 0000000064F8: D3B140C8 18039104
	v_pk_mul_f32 v[138:139], v[4:5], v[138:139]                // 000000006500: D3B1408A 18031504
	v_pk_mul_f32 v[202:203], v[4:5], v[202:203]                // 000000006508: D3B140CA 18039504
	v_mov_b32_e32 v4, v45                                      // 000000006510: 7E08032D
	v_mov_b32_e32 v5, v4                                       // 000000006514: 7E0A0304
	v_pk_mul_f32 v[108:109], v[4:5], v[108:109]                // 000000006518: D3B1406C 1802D904
	v_pk_mul_f32 v[172:173], v[4:5], v[172:173]                // 000000006520: D3B140AC 18035904
	v_pk_mul_f32 v[110:111], v[4:5], v[110:111]                // 000000006528: D3B1406E 1802DD04
	v_pk_mul_f32 v[174:175], v[4:5], v[174:175]                // 000000006530: D3B140AE 18035D04
	v_pk_mul_f32 v[140:141], v[4:5], v[140:141]                // 000000006538: D3B1408C 18031904
	v_pk_mul_f32 v[204:205], v[4:5], v[204:205]                // 000000006540: D3B140CC 18039904
	v_pk_mul_f32 v[142:143], v[4:5], v[142:143]                // 000000006548: D3B1408E 18031D04
	v_pk_mul_f32 v[206:207], v[4:5], v[206:207]                // 000000006550: D3B140CE 18039D04
	s_cmp_eq_u32 s88, 0                                        // 000000006558: BF068058
	s_cbranch_scc0 label_1839                                  // 00000000655C: BF840961
	s_cmp_eq_u32 s89, 0                                        // 000000006560: BF068059
	s_cbranch_scc1 label_115F                                  // 000000006564: BF850285
	v_mov_b32_e32 v8, v1                                       // 000000006568: 7E100301
	v_mov_b32_e32 v9, v1                                       // 00000000656C: 7E120301
	s_mov_b32 s60, s6                                          // 000000006570: BEBC0006
	s_mov_b32 s61, s6                                          // 000000006574: BEBD0006
	v_pk_mul_f32 v[4:5], v[80:81], v[80:81]                    // 000000006578: D3B14004 1802A150
	v_pk_mul_f32 v[6:7], v[82:83], v[82:83]                    // 000000006580: D3B14006 1802A552
	v_pk_fma_f32 v[4:5], v[4:5], s[78:79], v[8:9]              // 000000006588: D3B04004 1C209D04
	v_pk_fma_f32 v[6:7], v[6:7], s[78:79], v[8:9]              // 000000006590: D3B04006 1C209D06
	v_pk_mul_f32 v[4:5], v[4:5], v[80:81]                      // 000000006598: D3B14004 1802A104
	v_pk_mul_f32 v[6:7], v[6:7], v[82:83]                      // 0000000065A0: D3B14006 1802A506
	v_pk_mul_f32 v[4:5], v[4:5], s[60:61]                      // 0000000065A8: D3B14004 18007904
	v_pk_mul_f32 v[6:7], v[6:7], s[60:61]                      // 0000000065B0: D3B14006 18007906
	v_exp_f32_e32 v4, v4                                       // 0000000065B8: 7E084104
	v_exp_f32_e32 v5, v5                                       // 0000000065BC: 7E0A4105
	v_exp_f32_e32 v6, v6                                       // 0000000065C0: 7E0C4106
	v_exp_f32_e32 v7, v7                                       // 0000000065C4: 7E0E4107
	v_add_f32_e64 v4, v4, 1.0                                  // 0000000065C8: D1010004 0001E504
	v_add_f32_e64 v5, v5, 1.0                                  // 0000000065D0: D1010005 0001E505
	v_add_f32_e64 v6, v6, 1.0                                  // 0000000065D8: D1010006 0001E506
	v_add_f32_e64 v7, v7, 1.0                                  // 0000000065E0: D1010007 0001E507
	v_rcp_f32_e32 v4, v4                                       // 0000000065E8: 7E084504
	v_rcp_f32_e32 v5, v5                                       // 0000000065EC: 7E0A4505
	v_rcp_f32_e32 v6, v6                                       // 0000000065F0: 7E0C4506
	v_rcp_f32_e32 v7, v7                                       // 0000000065F4: 7E0E4507
	v_mul_f32_e32 v80, v80, v4                                 // 0000000065F8: 0AA00950
	v_mul_f32_e32 v81, v81, v5                                 // 0000000065FC: 0AA20B51
	v_mul_f32_e32 v82, v82, v6                                 // 000000006600: 0AA40D52
	v_mul_f32_e32 v83, v83, v7                                 // 000000006604: 0AA60F53
	v_mul_f32_e32 v80, v80, v144                               // 000000006608: 0AA12150
	v_mul_f32_e32 v81, v81, v145                               // 00000000660C: 0AA32351
	v_mul_f32_e32 v82, v82, v146                               // 000000006610: 0AA52552
	v_mul_f32_e32 v83, v83, v147                               // 000000006614: 0AA72753
	v_pk_mul_f32 v[4:5], v[84:85], v[84:85]                    // 000000006618: D3B14004 1802A954
	v_pk_mul_f32 v[6:7], v[86:87], v[86:87]                    // 000000006620: D3B14006 1802AD56
	v_pk_fma_f32 v[4:5], v[4:5], s[78:79], v[8:9]              // 000000006628: D3B04004 1C209D04
	v_pk_fma_f32 v[6:7], v[6:7], s[78:79], v[8:9]              // 000000006630: D3B04006 1C209D06
	v_pk_mul_f32 v[4:5], v[4:5], v[84:85]                      // 000000006638: D3B14004 1802A904
	v_pk_mul_f32 v[6:7], v[6:7], v[86:87]                      // 000000006640: D3B14006 1802AD06
	v_pk_mul_f32 v[4:5], v[4:5], s[60:61]                      // 000000006648: D3B14004 18007904
	v_pk_mul_f32 v[6:7], v[6:7], s[60:61]                      // 000000006650: D3B14006 18007906
	v_exp_f32_e32 v4, v4                                       // 000000006658: 7E084104
	v_exp_f32_e32 v5, v5                                       // 00000000665C: 7E0A4105
	v_exp_f32_e32 v6, v6                                       // 000000006660: 7E0C4106
	v_exp_f32_e32 v7, v7                                       // 000000006664: 7E0E4107
	v_add_f32_e64 v4, v4, 1.0                                  // 000000006668: D1010004 0001E504
	v_add_f32_e64 v5, v5, 1.0                                  // 000000006670: D1010005 0001E505
	v_add_f32_e64 v6, v6, 1.0                                  // 000000006678: D1010006 0001E506
	v_add_f32_e64 v7, v7, 1.0                                  // 000000006680: D1010007 0001E507
	v_rcp_f32_e32 v4, v4                                       // 000000006688: 7E084504
	v_rcp_f32_e32 v5, v5                                       // 00000000668C: 7E0A4505
	v_rcp_f32_e32 v6, v6                                       // 000000006690: 7E0C4506
	v_rcp_f32_e32 v7, v7                                       // 000000006694: 7E0E4507
	v_mul_f32_e32 v84, v84, v4                                 // 000000006698: 0AA80954
	v_mul_f32_e32 v85, v85, v5                                 // 00000000669C: 0AAA0B55
	v_mul_f32_e32 v86, v86, v6                                 // 0000000066A0: 0AAC0D56
	v_mul_f32_e32 v87, v87, v7                                 // 0000000066A4: 0AAE0F57
	v_mul_f32_e32 v84, v84, v148                               // 0000000066A8: 0AA92954
	v_mul_f32_e32 v85, v85, v149                               // 0000000066AC: 0AAB2B55
	v_mul_f32_e32 v86, v86, v150                               // 0000000066B0: 0AAD2D56
	v_mul_f32_e32 v87, v87, v151                               // 0000000066B4: 0AAF2F57
	v_pk_mul_f32 v[4:5], v[88:89], v[88:89]                    // 0000000066B8: D3B14004 1802B158
	v_pk_mul_f32 v[6:7], v[90:91], v[90:91]                    // 0000000066C0: D3B14006 1802B55A
	v_pk_fma_f32 v[4:5], v[4:5], s[78:79], v[8:9]              // 0000000066C8: D3B04004 1C209D04
	v_pk_fma_f32 v[6:7], v[6:7], s[78:79], v[8:9]              // 0000000066D0: D3B04006 1C209D06
	v_pk_mul_f32 v[4:5], v[4:5], v[88:89]                      // 0000000066D8: D3B14004 1802B104
	v_pk_mul_f32 v[6:7], v[6:7], v[90:91]                      // 0000000066E0: D3B14006 1802B506
	v_pk_mul_f32 v[4:5], v[4:5], s[60:61]                      // 0000000066E8: D3B14004 18007904
	v_pk_mul_f32 v[6:7], v[6:7], s[60:61]                      // 0000000066F0: D3B14006 18007906
	v_exp_f32_e32 v4, v4                                       // 0000000066F8: 7E084104
	v_exp_f32_e32 v5, v5                                       // 0000000066FC: 7E0A4105
	v_exp_f32_e32 v6, v6                                       // 000000006700: 7E0C4106
	v_exp_f32_e32 v7, v7                                       // 000000006704: 7E0E4107
	v_add_f32_e64 v4, v4, 1.0                                  // 000000006708: D1010004 0001E504
	v_add_f32_e64 v5, v5, 1.0                                  // 000000006710: D1010005 0001E505
	v_add_f32_e64 v6, v6, 1.0                                  // 000000006718: D1010006 0001E506
	v_add_f32_e64 v7, v7, 1.0                                  // 000000006720: D1010007 0001E507
	v_rcp_f32_e32 v4, v4                                       // 000000006728: 7E084504
	v_rcp_f32_e32 v5, v5                                       // 00000000672C: 7E0A4505
	v_rcp_f32_e32 v6, v6                                       // 000000006730: 7E0C4506
	v_rcp_f32_e32 v7, v7                                       // 000000006734: 7E0E4507
	v_mul_f32_e32 v88, v88, v4                                 // 000000006738: 0AB00958
	v_mul_f32_e32 v89, v89, v5                                 // 00000000673C: 0AB20B59
	v_mul_f32_e32 v90, v90, v6                                 // 000000006740: 0AB40D5A
	v_mul_f32_e32 v91, v91, v7                                 // 000000006744: 0AB60F5B
	v_mul_f32_e32 v88, v88, v152                               // 000000006748: 0AB13158
	v_mul_f32_e32 v89, v89, v153                               // 00000000674C: 0AB33359
	v_mul_f32_e32 v90, v90, v154                               // 000000006750: 0AB5355A
	v_mul_f32_e32 v91, v91, v155                               // 000000006754: 0AB7375B
	v_pk_mul_f32 v[4:5], v[92:93], v[92:93]                    // 000000006758: D3B14004 1802B95C
	v_pk_mul_f32 v[6:7], v[94:95], v[94:95]                    // 000000006760: D3B14006 1802BD5E
	v_pk_fma_f32 v[4:5], v[4:5], s[78:79], v[8:9]              // 000000006768: D3B04004 1C209D04
	v_pk_fma_f32 v[6:7], v[6:7], s[78:79], v[8:9]              // 000000006770: D3B04006 1C209D06
	v_pk_mul_f32 v[4:5], v[4:5], v[92:93]                      // 000000006778: D3B14004 1802B904
	v_pk_mul_f32 v[6:7], v[6:7], v[94:95]                      // 000000006780: D3B14006 1802BD06
	v_pk_mul_f32 v[4:5], v[4:5], s[60:61]                      // 000000006788: D3B14004 18007904
	v_pk_mul_f32 v[6:7], v[6:7], s[60:61]                      // 000000006790: D3B14006 18007906
	v_exp_f32_e32 v4, v4                                       // 000000006798: 7E084104
	v_exp_f32_e32 v5, v5                                       // 00000000679C: 7E0A4105
	v_exp_f32_e32 v6, v6                                       // 0000000067A0: 7E0C4106
	v_exp_f32_e32 v7, v7                                       // 0000000067A4: 7E0E4107
	v_add_f32_e64 v4, v4, 1.0                                  // 0000000067A8: D1010004 0001E504
	v_add_f32_e64 v5, v5, 1.0                                  // 0000000067B0: D1010005 0001E505
	v_add_f32_e64 v6, v6, 1.0                                  // 0000000067B8: D1010006 0001E506
	v_add_f32_e64 v7, v7, 1.0                                  // 0000000067C0: D1010007 0001E507
	v_rcp_f32_e32 v4, v4                                       // 0000000067C8: 7E084504
	v_rcp_f32_e32 v5, v5                                       // 0000000067CC: 7E0A4505
	v_rcp_f32_e32 v6, v6                                       // 0000000067D0: 7E0C4506
	v_rcp_f32_e32 v7, v7                                       // 0000000067D4: 7E0E4507
	v_mul_f32_e32 v92, v92, v4                                 // 0000000067D8: 0AB8095C
	v_mul_f32_e32 v93, v93, v5                                 // 0000000067DC: 0ABA0B5D
	v_mul_f32_e32 v94, v94, v6                                 // 0000000067E0: 0ABC0D5E
	v_mul_f32_e32 v95, v95, v7                                 // 0000000067E4: 0ABE0F5F
	v_mul_f32_e32 v92, v92, v156                               // 0000000067E8: 0AB9395C
	v_mul_f32_e32 v93, v93, v157                               // 0000000067EC: 0ABB3B5D
	v_mul_f32_e32 v94, v94, v158                               // 0000000067F0: 0ABD3D5E
	v_mul_f32_e32 v95, v95, v159                               // 0000000067F4: 0ABF3F5F
	v_pk_mul_f32 v[4:5], v[96:97], v[96:97]                    // 0000000067F8: D3B14004 1802C160
	v_pk_mul_f32 v[6:7], v[98:99], v[98:99]                    // 000000006800: D3B14006 1802C562
	v_pk_fma_f32 v[4:5], v[4:5], s[78:79], v[8:9]              // 000000006808: D3B04004 1C209D04
	v_pk_fma_f32 v[6:7], v[6:7], s[78:79], v[8:9]              // 000000006810: D3B04006 1C209D06
	v_pk_mul_f32 v[4:5], v[4:5], v[96:97]                      // 000000006818: D3B14004 1802C104
	v_pk_mul_f32 v[6:7], v[6:7], v[98:99]                      // 000000006820: D3B14006 1802C506
	v_pk_mul_f32 v[4:5], v[4:5], s[60:61]                      // 000000006828: D3B14004 18007904
	v_pk_mul_f32 v[6:7], v[6:7], s[60:61]                      // 000000006830: D3B14006 18007906
	v_exp_f32_e32 v4, v4                                       // 000000006838: 7E084104
	v_exp_f32_e32 v5, v5                                       // 00000000683C: 7E0A4105
	v_exp_f32_e32 v6, v6                                       // 000000006840: 7E0C4106
	v_exp_f32_e32 v7, v7                                       // 000000006844: 7E0E4107
	v_add_f32_e64 v4, v4, 1.0                                  // 000000006848: D1010004 0001E504
	v_add_f32_e64 v5, v5, 1.0                                  // 000000006850: D1010005 0001E505
	v_add_f32_e64 v6, v6, 1.0                                  // 000000006858: D1010006 0001E506
	v_add_f32_e64 v7, v7, 1.0                                  // 000000006860: D1010007 0001E507
	v_rcp_f32_e32 v4, v4                                       // 000000006868: 7E084504
	v_rcp_f32_e32 v5, v5                                       // 00000000686C: 7E0A4505
	v_rcp_f32_e32 v6, v6                                       // 000000006870: 7E0C4506
	v_rcp_f32_e32 v7, v7                                       // 000000006874: 7E0E4507
	v_mul_f32_e32 v96, v96, v4                                 // 000000006878: 0AC00960
	v_mul_f32_e32 v97, v97, v5                                 // 00000000687C: 0AC20B61
	v_mul_f32_e32 v98, v98, v6                                 // 000000006880: 0AC40D62
	v_mul_f32_e32 v99, v99, v7                                 // 000000006884: 0AC60F63
	v_mul_f32_e32 v96, v96, v160                               // 000000006888: 0AC14160
	v_mul_f32_e32 v97, v97, v161                               // 00000000688C: 0AC34361
	v_mul_f32_e32 v98, v98, v162                               // 000000006890: 0AC54562
	v_mul_f32_e32 v99, v99, v163                               // 000000006894: 0AC74763
	v_pk_mul_f32 v[4:5], v[100:101], v[100:101]                // 000000006898: D3B14004 1802C964
	v_pk_mul_f32 v[6:7], v[102:103], v[102:103]                // 0000000068A0: D3B14006 1802CD66
	v_pk_fma_f32 v[4:5], v[4:5], s[78:79], v[8:9]              // 0000000068A8: D3B04004 1C209D04
	v_pk_fma_f32 v[6:7], v[6:7], s[78:79], v[8:9]              // 0000000068B0: D3B04006 1C209D06
	v_pk_mul_f32 v[4:5], v[4:5], v[100:101]                    // 0000000068B8: D3B14004 1802C904
	v_pk_mul_f32 v[6:7], v[6:7], v[102:103]                    // 0000000068C0: D3B14006 1802CD06
	v_pk_mul_f32 v[4:5], v[4:5], s[60:61]                      // 0000000068C8: D3B14004 18007904
	v_pk_mul_f32 v[6:7], v[6:7], s[60:61]                      // 0000000068D0: D3B14006 18007906
	v_exp_f32_e32 v4, v4                                       // 0000000068D8: 7E084104
	v_exp_f32_e32 v5, v5                                       // 0000000068DC: 7E0A4105
	v_exp_f32_e32 v6, v6                                       // 0000000068E0: 7E0C4106
	v_exp_f32_e32 v7, v7                                       // 0000000068E4: 7E0E4107
	v_add_f32_e64 v4, v4, 1.0                                  // 0000000068E8: D1010004 0001E504
	v_add_f32_e64 v5, v5, 1.0                                  // 0000000068F0: D1010005 0001E505
	v_add_f32_e64 v6, v6, 1.0                                  // 0000000068F8: D1010006 0001E506
	v_add_f32_e64 v7, v7, 1.0                                  // 000000006900: D1010007 0001E507
	v_rcp_f32_e32 v4, v4                                       // 000000006908: 7E084504
	v_rcp_f32_e32 v5, v5                                       // 00000000690C: 7E0A4505
	v_rcp_f32_e32 v6, v6                                       // 000000006910: 7E0C4506
	v_rcp_f32_e32 v7, v7                                       // 000000006914: 7E0E4507
	v_mul_f32_e32 v100, v100, v4                               // 000000006918: 0AC80964
	v_mul_f32_e32 v101, v101, v5                               // 00000000691C: 0ACA0B65
	v_mul_f32_e32 v102, v102, v6                               // 000000006920: 0ACC0D66
	v_mul_f32_e32 v103, v103, v7                               // 000000006924: 0ACE0F67
	v_mul_f32_e32 v100, v100, v164                             // 000000006928: 0AC94964
	v_mul_f32_e32 v101, v101, v165                             // 00000000692C: 0ACB4B65
	v_mul_f32_e32 v102, v102, v166                             // 000000006930: 0ACD4D66
	v_mul_f32_e32 v103, v103, v167                             // 000000006934: 0ACF4F67
	v_pk_mul_f32 v[4:5], v[104:105], v[104:105]                // 000000006938: D3B14004 1802D168
	v_pk_mul_f32 v[6:7], v[106:107], v[106:107]                // 000000006940: D3B14006 1802D56A
	v_pk_fma_f32 v[4:5], v[4:5], s[78:79], v[8:9]              // 000000006948: D3B04004 1C209D04
	v_pk_fma_f32 v[6:7], v[6:7], s[78:79], v[8:9]              // 000000006950: D3B04006 1C209D06
	v_pk_mul_f32 v[4:5], v[4:5], v[104:105]                    // 000000006958: D3B14004 1802D104
	v_pk_mul_f32 v[6:7], v[6:7], v[106:107]                    // 000000006960: D3B14006 1802D506
	v_pk_mul_f32 v[4:5], v[4:5], s[60:61]                      // 000000006968: D3B14004 18007904
	v_pk_mul_f32 v[6:7], v[6:7], s[60:61]                      // 000000006970: D3B14006 18007906
	v_exp_f32_e32 v4, v4                                       // 000000006978: 7E084104
	v_exp_f32_e32 v5, v5                                       // 00000000697C: 7E0A4105
	v_exp_f32_e32 v6, v6                                       // 000000006980: 7E0C4106
	v_exp_f32_e32 v7, v7                                       // 000000006984: 7E0E4107
	v_add_f32_e64 v4, v4, 1.0                                  // 000000006988: D1010004 0001E504
	v_add_f32_e64 v5, v5, 1.0                                  // 000000006990: D1010005 0001E505
	v_add_f32_e64 v6, v6, 1.0                                  // 000000006998: D1010006 0001E506
	v_add_f32_e64 v7, v7, 1.0                                  // 0000000069A0: D1010007 0001E507
	v_rcp_f32_e32 v4, v4                                       // 0000000069A8: 7E084504
	v_rcp_f32_e32 v5, v5                                       // 0000000069AC: 7E0A4505
	v_rcp_f32_e32 v6, v6                                       // 0000000069B0: 7E0C4506
	v_rcp_f32_e32 v7, v7                                       // 0000000069B4: 7E0E4507
	v_mul_f32_e32 v104, v104, v4                               // 0000000069B8: 0AD00968
	v_mul_f32_e32 v105, v105, v5                               // 0000000069BC: 0AD20B69
	v_mul_f32_e32 v106, v106, v6                               // 0000000069C0: 0AD40D6A
	v_mul_f32_e32 v107, v107, v7                               // 0000000069C4: 0AD60F6B
	v_mul_f32_e32 v104, v104, v168                             // 0000000069C8: 0AD15168
	v_mul_f32_e32 v105, v105, v169                             // 0000000069CC: 0AD35369
	v_mul_f32_e32 v106, v106, v170                             // 0000000069D0: 0AD5556A
	v_mul_f32_e32 v107, v107, v171                             // 0000000069D4: 0AD7576B
	v_pk_mul_f32 v[4:5], v[108:109], v[108:109]                // 0000000069D8: D3B14004 1802D96C
	v_pk_mul_f32 v[6:7], v[110:111], v[110:111]                // 0000000069E0: D3B14006 1802DD6E
	v_pk_fma_f32 v[4:5], v[4:5], s[78:79], v[8:9]              // 0000000069E8: D3B04004 1C209D04
	v_pk_fma_f32 v[6:7], v[6:7], s[78:79], v[8:9]              // 0000000069F0: D3B04006 1C209D06
	v_pk_mul_f32 v[4:5], v[4:5], v[108:109]                    // 0000000069F8: D3B14004 1802D904
	v_pk_mul_f32 v[6:7], v[6:7], v[110:111]                    // 000000006A00: D3B14006 1802DD06
	v_pk_mul_f32 v[4:5], v[4:5], s[60:61]                      // 000000006A08: D3B14004 18007904
	v_pk_mul_f32 v[6:7], v[6:7], s[60:61]                      // 000000006A10: D3B14006 18007906
	v_exp_f32_e32 v4, v4                                       // 000000006A18: 7E084104
	v_exp_f32_e32 v5, v5                                       // 000000006A1C: 7E0A4105
	v_exp_f32_e32 v6, v6                                       // 000000006A20: 7E0C4106
	v_exp_f32_e32 v7, v7                                       // 000000006A24: 7E0E4107
	v_add_f32_e64 v4, v4, 1.0                                  // 000000006A28: D1010004 0001E504
	v_add_f32_e64 v5, v5, 1.0                                  // 000000006A30: D1010005 0001E505
	v_add_f32_e64 v6, v6, 1.0                                  // 000000006A38: D1010006 0001E506
	v_add_f32_e64 v7, v7, 1.0                                  // 000000006A40: D1010007 0001E507
	v_rcp_f32_e32 v4, v4                                       // 000000006A48: 7E084504
	v_rcp_f32_e32 v5, v5                                       // 000000006A4C: 7E0A4505
	v_rcp_f32_e32 v6, v6                                       // 000000006A50: 7E0C4506
	v_rcp_f32_e32 v7, v7                                       // 000000006A54: 7E0E4507
	v_mul_f32_e32 v108, v108, v4                               // 000000006A58: 0AD8096C
	v_mul_f32_e32 v109, v109, v5                               // 000000006A5C: 0ADA0B6D
	v_mul_f32_e32 v110, v110, v6                               // 000000006A60: 0ADC0D6E
	v_mul_f32_e32 v111, v111, v7                               // 000000006A64: 0ADE0F6F
	v_mul_f32_e32 v108, v108, v172                             // 000000006A68: 0AD9596C
	v_mul_f32_e32 v109, v109, v173                             // 000000006A6C: 0ADB5B6D
	v_mul_f32_e32 v110, v110, v174                             // 000000006A70: 0ADD5D6E
	v_mul_f32_e32 v111, v111, v175                             // 000000006A74: 0ADF5F6F
	v_pk_mul_f32 v[4:5], v[112:113], v[112:113]                // 000000006A78: D3B14004 1802E170
	v_pk_mul_f32 v[6:7], v[114:115], v[114:115]                // 000000006A80: D3B14006 1802E572
	v_pk_fma_f32 v[4:5], v[4:5], s[78:79], v[8:9]              // 000000006A88: D3B04004 1C209D04
	v_pk_fma_f32 v[6:7], v[6:7], s[78:79], v[8:9]              // 000000006A90: D3B04006 1C209D06
	v_pk_mul_f32 v[4:5], v[4:5], v[112:113]                    // 000000006A98: D3B14004 1802E104
	v_pk_mul_f32 v[6:7], v[6:7], v[114:115]                    // 000000006AA0: D3B14006 1802E506
	v_pk_mul_f32 v[4:5], v[4:5], s[60:61]                      // 000000006AA8: D3B14004 18007904
	v_pk_mul_f32 v[6:7], v[6:7], s[60:61]                      // 000000006AB0: D3B14006 18007906
	v_exp_f32_e32 v4, v4                                       // 000000006AB8: 7E084104
	v_exp_f32_e32 v5, v5                                       // 000000006ABC: 7E0A4105
	v_exp_f32_e32 v6, v6                                       // 000000006AC0: 7E0C4106
	v_exp_f32_e32 v7, v7                                       // 000000006AC4: 7E0E4107
	v_add_f32_e64 v4, v4, 1.0                                  // 000000006AC8: D1010004 0001E504
	v_add_f32_e64 v5, v5, 1.0                                  // 000000006AD0: D1010005 0001E505
	v_add_f32_e64 v6, v6, 1.0                                  // 000000006AD8: D1010006 0001E506
	v_add_f32_e64 v7, v7, 1.0                                  // 000000006AE0: D1010007 0001E507
	v_rcp_f32_e32 v4, v4                                       // 000000006AE8: 7E084504
	v_rcp_f32_e32 v5, v5                                       // 000000006AEC: 7E0A4505
	v_rcp_f32_e32 v6, v6                                       // 000000006AF0: 7E0C4506
	v_rcp_f32_e32 v7, v7                                       // 000000006AF4: 7E0E4507
	v_mul_f32_e32 v112, v112, v4                               // 000000006AF8: 0AE00970
	v_mul_f32_e32 v113, v113, v5                               // 000000006AFC: 0AE20B71
	v_mul_f32_e32 v114, v114, v6                               // 000000006B00: 0AE40D72
	v_mul_f32_e32 v115, v115, v7                               // 000000006B04: 0AE60F73
	v_mul_f32_e32 v112, v112, v176                             // 000000006B08: 0AE16170
	v_mul_f32_e32 v113, v113, v177                             // 000000006B0C: 0AE36371
	v_mul_f32_e32 v114, v114, v178                             // 000000006B10: 0AE56572
	v_mul_f32_e32 v115, v115, v179                             // 000000006B14: 0AE76773
	v_pk_mul_f32 v[4:5], v[116:117], v[116:117]                // 000000006B18: D3B14004 1802E974
	v_pk_mul_f32 v[6:7], v[118:119], v[118:119]                // 000000006B20: D3B14006 1802ED76
	v_pk_fma_f32 v[4:5], v[4:5], s[78:79], v[8:9]              // 000000006B28: D3B04004 1C209D04
	v_pk_fma_f32 v[6:7], v[6:7], s[78:79], v[8:9]              // 000000006B30: D3B04006 1C209D06
	v_pk_mul_f32 v[4:5], v[4:5], v[116:117]                    // 000000006B38: D3B14004 1802E904
	v_pk_mul_f32 v[6:7], v[6:7], v[118:119]                    // 000000006B40: D3B14006 1802ED06
	v_pk_mul_f32 v[4:5], v[4:5], s[60:61]                      // 000000006B48: D3B14004 18007904
	v_pk_mul_f32 v[6:7], v[6:7], s[60:61]                      // 000000006B50: D3B14006 18007906
	v_exp_f32_e32 v4, v4                                       // 000000006B58: 7E084104
	v_exp_f32_e32 v5, v5                                       // 000000006B5C: 7E0A4105
	v_exp_f32_e32 v6, v6                                       // 000000006B60: 7E0C4106
	v_exp_f32_e32 v7, v7                                       // 000000006B64: 7E0E4107
	v_add_f32_e64 v4, v4, 1.0                                  // 000000006B68: D1010004 0001E504
	v_add_f32_e64 v5, v5, 1.0                                  // 000000006B70: D1010005 0001E505
	v_add_f32_e64 v6, v6, 1.0                                  // 000000006B78: D1010006 0001E506
	v_add_f32_e64 v7, v7, 1.0                                  // 000000006B80: D1010007 0001E507
	v_rcp_f32_e32 v4, v4                                       // 000000006B88: 7E084504
	v_rcp_f32_e32 v5, v5                                       // 000000006B8C: 7E0A4505
	v_rcp_f32_e32 v6, v6                                       // 000000006B90: 7E0C4506
	v_rcp_f32_e32 v7, v7                                       // 000000006B94: 7E0E4507
	v_mul_f32_e32 v116, v116, v4                               // 000000006B98: 0AE80974
	v_mul_f32_e32 v117, v117, v5                               // 000000006B9C: 0AEA0B75
	v_mul_f32_e32 v118, v118, v6                               // 000000006BA0: 0AEC0D76
	v_mul_f32_e32 v119, v119, v7                               // 000000006BA4: 0AEE0F77
	v_mul_f32_e32 v116, v116, v180                             // 000000006BA8: 0AE96974
	v_mul_f32_e32 v117, v117, v181                             // 000000006BAC: 0AEB6B75
	v_mul_f32_e32 v118, v118, v182                             // 000000006BB0: 0AED6D76
	v_mul_f32_e32 v119, v119, v183                             // 000000006BB4: 0AEF6F77
	v_pk_mul_f32 v[4:5], v[120:121], v[120:121]                // 000000006BB8: D3B14004 1802F178
	v_pk_mul_f32 v[6:7], v[122:123], v[122:123]                // 000000006BC0: D3B14006 1802F57A
	v_pk_fma_f32 v[4:5], v[4:5], s[78:79], v[8:9]              // 000000006BC8: D3B04004 1C209D04
	v_pk_fma_f32 v[6:7], v[6:7], s[78:79], v[8:9]              // 000000006BD0: D3B04006 1C209D06
	v_pk_mul_f32 v[4:5], v[4:5], v[120:121]                    // 000000006BD8: D3B14004 1802F104
	v_pk_mul_f32 v[6:7], v[6:7], v[122:123]                    // 000000006BE0: D3B14006 1802F506
	v_pk_mul_f32 v[4:5], v[4:5], s[60:61]                      // 000000006BE8: D3B14004 18007904
	v_pk_mul_f32 v[6:7], v[6:7], s[60:61]                      // 000000006BF0: D3B14006 18007906
	v_exp_f32_e32 v4, v4                                       // 000000006BF8: 7E084104
	v_exp_f32_e32 v5, v5                                       // 000000006BFC: 7E0A4105
	v_exp_f32_e32 v6, v6                                       // 000000006C00: 7E0C4106
	v_exp_f32_e32 v7, v7                                       // 000000006C04: 7E0E4107
	v_add_f32_e64 v4, v4, 1.0                                  // 000000006C08: D1010004 0001E504
	v_add_f32_e64 v5, v5, 1.0                                  // 000000006C10: D1010005 0001E505
	v_add_f32_e64 v6, v6, 1.0                                  // 000000006C18: D1010006 0001E506
	v_add_f32_e64 v7, v7, 1.0                                  // 000000006C20: D1010007 0001E507
	v_rcp_f32_e32 v4, v4                                       // 000000006C28: 7E084504
	v_rcp_f32_e32 v5, v5                                       // 000000006C2C: 7E0A4505
	v_rcp_f32_e32 v6, v6                                       // 000000006C30: 7E0C4506
	v_rcp_f32_e32 v7, v7                                       // 000000006C34: 7E0E4507
	v_mul_f32_e32 v120, v120, v4                               // 000000006C38: 0AF00978
	v_mul_f32_e32 v121, v121, v5                               // 000000006C3C: 0AF20B79
	v_mul_f32_e32 v122, v122, v6                               // 000000006C40: 0AF40D7A
	v_mul_f32_e32 v123, v123, v7                               // 000000006C44: 0AF60F7B
	v_mul_f32_e32 v120, v120, v184                             // 000000006C48: 0AF17178
	v_mul_f32_e32 v121, v121, v185                             // 000000006C4C: 0AF37379
	v_mul_f32_e32 v122, v122, v186                             // 000000006C50: 0AF5757A
	v_mul_f32_e32 v123, v123, v187                             // 000000006C54: 0AF7777B
	v_pk_mul_f32 v[4:5], v[124:125], v[124:125]                // 000000006C58: D3B14004 1802F97C
	v_pk_mul_f32 v[6:7], v[126:127], v[126:127]                // 000000006C60: D3B14006 1802FD7E
	v_pk_fma_f32 v[4:5], v[4:5], s[78:79], v[8:9]              // 000000006C68: D3B04004 1C209D04
	v_pk_fma_f32 v[6:7], v[6:7], s[78:79], v[8:9]              // 000000006C70: D3B04006 1C209D06
	v_pk_mul_f32 v[4:5], v[4:5], v[124:125]                    // 000000006C78: D3B14004 1802F904
	v_pk_mul_f32 v[6:7], v[6:7], v[126:127]                    // 000000006C80: D3B14006 1802FD06
	v_pk_mul_f32 v[4:5], v[4:5], s[60:61]                      // 000000006C88: D3B14004 18007904
	v_pk_mul_f32 v[6:7], v[6:7], s[60:61]                      // 000000006C90: D3B14006 18007906
	v_exp_f32_e32 v4, v4                                       // 000000006C98: 7E084104
	v_exp_f32_e32 v5, v5                                       // 000000006C9C: 7E0A4105
	v_exp_f32_e32 v6, v6                                       // 000000006CA0: 7E0C4106
	v_exp_f32_e32 v7, v7                                       // 000000006CA4: 7E0E4107
	v_add_f32_e64 v4, v4, 1.0                                  // 000000006CA8: D1010004 0001E504
	v_add_f32_e64 v5, v5, 1.0                                  // 000000006CB0: D1010005 0001E505
	v_add_f32_e64 v6, v6, 1.0                                  // 000000006CB8: D1010006 0001E506
	v_add_f32_e64 v7, v7, 1.0                                  // 000000006CC0: D1010007 0001E507
	v_rcp_f32_e32 v4, v4                                       // 000000006CC8: 7E084504
	v_rcp_f32_e32 v5, v5                                       // 000000006CCC: 7E0A4505
	v_rcp_f32_e32 v6, v6                                       // 000000006CD0: 7E0C4506
	v_rcp_f32_e32 v7, v7                                       // 000000006CD4: 7E0E4507
	v_mul_f32_e32 v124, v124, v4                               // 000000006CD8: 0AF8097C
	v_mul_f32_e32 v125, v125, v5                               // 000000006CDC: 0AFA0B7D
	v_mul_f32_e32 v126, v126, v6                               // 000000006CE0: 0AFC0D7E
	v_mul_f32_e32 v127, v127, v7                               // 000000006CE4: 0AFE0F7F
	v_mul_f32_e32 v124, v124, v188                             // 000000006CE8: 0AF9797C
	v_mul_f32_e32 v125, v125, v189                             // 000000006CEC: 0AFB7B7D
	v_mul_f32_e32 v126, v126, v190                             // 000000006CF0: 0AFD7D7E
	v_mul_f32_e32 v127, v127, v191                             // 000000006CF4: 0AFF7F7F
	v_pk_mul_f32 v[4:5], v[128:129], v[128:129]                // 000000006CF8: D3B14004 18030180
	v_pk_mul_f32 v[6:7], v[130:131], v[130:131]                // 000000006D00: D3B14006 18030582
	v_pk_fma_f32 v[4:5], v[4:5], s[78:79], v[8:9]              // 000000006D08: D3B04004 1C209D04
	v_pk_fma_f32 v[6:7], v[6:7], s[78:79], v[8:9]              // 000000006D10: D3B04006 1C209D06
	v_pk_mul_f32 v[4:5], v[4:5], v[128:129]                    // 000000006D18: D3B14004 18030104
	v_pk_mul_f32 v[6:7], v[6:7], v[130:131]                    // 000000006D20: D3B14006 18030506
	v_pk_mul_f32 v[4:5], v[4:5], s[60:61]                      // 000000006D28: D3B14004 18007904
	v_pk_mul_f32 v[6:7], v[6:7], s[60:61]                      // 000000006D30: D3B14006 18007906
	v_exp_f32_e32 v4, v4                                       // 000000006D38: 7E084104
	v_exp_f32_e32 v5, v5                                       // 000000006D3C: 7E0A4105
	v_exp_f32_e32 v6, v6                                       // 000000006D40: 7E0C4106
	v_exp_f32_e32 v7, v7                                       // 000000006D44: 7E0E4107
	v_add_f32_e64 v4, v4, 1.0                                  // 000000006D48: D1010004 0001E504
	v_add_f32_e64 v5, v5, 1.0                                  // 000000006D50: D1010005 0001E505
	v_add_f32_e64 v6, v6, 1.0                                  // 000000006D58: D1010006 0001E506
	v_add_f32_e64 v7, v7, 1.0                                  // 000000006D60: D1010007 0001E507
	v_rcp_f32_e32 v4, v4                                       // 000000006D68: 7E084504
	v_rcp_f32_e32 v5, v5                                       // 000000006D6C: 7E0A4505
	v_rcp_f32_e32 v6, v6                                       // 000000006D70: 7E0C4506
	v_rcp_f32_e32 v7, v7                                       // 000000006D74: 7E0E4507
	v_mul_f32_e32 v128, v128, v4                               // 000000006D78: 0B000980
	v_mul_f32_e32 v129, v129, v5                               // 000000006D7C: 0B020B81
	v_mul_f32_e32 v130, v130, v6                               // 000000006D80: 0B040D82
	v_mul_f32_e32 v131, v131, v7                               // 000000006D84: 0B060F83
	v_mul_f32_e32 v128, v128, v192                             // 000000006D88: 0B018180
	v_mul_f32_e32 v129, v129, v193                             // 000000006D8C: 0B038381
	v_mul_f32_e32 v130, v130, v194                             // 000000006D90: 0B058582
	v_mul_f32_e32 v131, v131, v195                             // 000000006D94: 0B078783
	v_pk_mul_f32 v[4:5], v[132:133], v[132:133]                // 000000006D98: D3B14004 18030984
	v_pk_mul_f32 v[6:7], v[134:135], v[134:135]                // 000000006DA0: D3B14006 18030D86
	v_pk_fma_f32 v[4:5], v[4:5], s[78:79], v[8:9]              // 000000006DA8: D3B04004 1C209D04
	v_pk_fma_f32 v[6:7], v[6:7], s[78:79], v[8:9]              // 000000006DB0: D3B04006 1C209D06
	v_pk_mul_f32 v[4:5], v[4:5], v[132:133]                    // 000000006DB8: D3B14004 18030904
	v_pk_mul_f32 v[6:7], v[6:7], v[134:135]                    // 000000006DC0: D3B14006 18030D06
	v_pk_mul_f32 v[4:5], v[4:5], s[60:61]                      // 000000006DC8: D3B14004 18007904
	v_pk_mul_f32 v[6:7], v[6:7], s[60:61]                      // 000000006DD0: D3B14006 18007906
	v_exp_f32_e32 v4, v4                                       // 000000006DD8: 7E084104
	v_exp_f32_e32 v5, v5                                       // 000000006DDC: 7E0A4105
	v_exp_f32_e32 v6, v6                                       // 000000006DE0: 7E0C4106
	v_exp_f32_e32 v7, v7                                       // 000000006DE4: 7E0E4107
	v_add_f32_e64 v4, v4, 1.0                                  // 000000006DE8: D1010004 0001E504
	v_add_f32_e64 v5, v5, 1.0                                  // 000000006DF0: D1010005 0001E505
	v_add_f32_e64 v6, v6, 1.0                                  // 000000006DF8: D1010006 0001E506
	v_add_f32_e64 v7, v7, 1.0                                  // 000000006E00: D1010007 0001E507
	v_rcp_f32_e32 v4, v4                                       // 000000006E08: 7E084504
	v_rcp_f32_e32 v5, v5                                       // 000000006E0C: 7E0A4505
	v_rcp_f32_e32 v6, v6                                       // 000000006E10: 7E0C4506
	v_rcp_f32_e32 v7, v7                                       // 000000006E14: 7E0E4507
	v_mul_f32_e32 v132, v132, v4                               // 000000006E18: 0B080984
	v_mul_f32_e32 v133, v133, v5                               // 000000006E1C: 0B0A0B85
	v_mul_f32_e32 v134, v134, v6                               // 000000006E20: 0B0C0D86
	v_mul_f32_e32 v135, v135, v7                               // 000000006E24: 0B0E0F87
	v_mul_f32_e32 v132, v132, v196                             // 000000006E28: 0B098984
	v_mul_f32_e32 v133, v133, v197                             // 000000006E2C: 0B0B8B85
	v_mul_f32_e32 v134, v134, v198                             // 000000006E30: 0B0D8D86
	v_mul_f32_e32 v135, v135, v199                             // 000000006E34: 0B0F8F87
	v_pk_mul_f32 v[4:5], v[136:137], v[136:137]                // 000000006E38: D3B14004 18031188
	v_pk_mul_f32 v[6:7], v[138:139], v[138:139]                // 000000006E40: D3B14006 1803158A
	v_pk_fma_f32 v[4:5], v[4:5], s[78:79], v[8:9]              // 000000006E48: D3B04004 1C209D04
	v_pk_fma_f32 v[6:7], v[6:7], s[78:79], v[8:9]              // 000000006E50: D3B04006 1C209D06
	v_pk_mul_f32 v[4:5], v[4:5], v[136:137]                    // 000000006E58: D3B14004 18031104
	v_pk_mul_f32 v[6:7], v[6:7], v[138:139]                    // 000000006E60: D3B14006 18031506
	v_pk_mul_f32 v[4:5], v[4:5], s[60:61]                      // 000000006E68: D3B14004 18007904
	v_pk_mul_f32 v[6:7], v[6:7], s[60:61]                      // 000000006E70: D3B14006 18007906
	v_exp_f32_e32 v4, v4                                       // 000000006E78: 7E084104
	v_exp_f32_e32 v5, v5                                       // 000000006E7C: 7E0A4105
	v_exp_f32_e32 v6, v6                                       // 000000006E80: 7E0C4106
	v_exp_f32_e32 v7, v7                                       // 000000006E84: 7E0E4107
	v_add_f32_e64 v4, v4, 1.0                                  // 000000006E88: D1010004 0001E504
	v_add_f32_e64 v5, v5, 1.0                                  // 000000006E90: D1010005 0001E505
	v_add_f32_e64 v6, v6, 1.0                                  // 000000006E98: D1010006 0001E506
	v_add_f32_e64 v7, v7, 1.0                                  // 000000006EA0: D1010007 0001E507
	v_rcp_f32_e32 v4, v4                                       // 000000006EA8: 7E084504
	v_rcp_f32_e32 v5, v5                                       // 000000006EAC: 7E0A4505
	v_rcp_f32_e32 v6, v6                                       // 000000006EB0: 7E0C4506
	v_rcp_f32_e32 v7, v7                                       // 000000006EB4: 7E0E4507
	v_mul_f32_e32 v136, v136, v4                               // 000000006EB8: 0B100988
	v_mul_f32_e32 v137, v137, v5                               // 000000006EBC: 0B120B89
	v_mul_f32_e32 v138, v138, v6                               // 000000006EC0: 0B140D8A
	v_mul_f32_e32 v139, v139, v7                               // 000000006EC4: 0B160F8B
	v_mul_f32_e32 v136, v136, v200                             // 000000006EC8: 0B119188
	v_mul_f32_e32 v137, v137, v201                             // 000000006ECC: 0B139389
	v_mul_f32_e32 v138, v138, v202                             // 000000006ED0: 0B15958A
	v_mul_f32_e32 v139, v139, v203                             // 000000006ED4: 0B17978B
	v_pk_mul_f32 v[4:5], v[140:141], v[140:141]                // 000000006ED8: D3B14004 1803198C
	v_pk_mul_f32 v[6:7], v[142:143], v[142:143]                // 000000006EE0: D3B14006 18031D8E
	v_pk_fma_f32 v[4:5], v[4:5], s[78:79], v[8:9]              // 000000006EE8: D3B04004 1C209D04
	v_pk_fma_f32 v[6:7], v[6:7], s[78:79], v[8:9]              // 000000006EF0: D3B04006 1C209D06
	v_pk_mul_f32 v[4:5], v[4:5], v[140:141]                    // 000000006EF8: D3B14004 18031904
	v_pk_mul_f32 v[6:7], v[6:7], v[142:143]                    // 000000006F00: D3B14006 18031D06
	v_pk_mul_f32 v[4:5], v[4:5], s[60:61]                      // 000000006F08: D3B14004 18007904
	v_pk_mul_f32 v[6:7], v[6:7], s[60:61]                      // 000000006F10: D3B14006 18007906
	v_exp_f32_e32 v4, v4                                       // 000000006F18: 7E084104
	v_exp_f32_e32 v5, v5                                       // 000000006F1C: 7E0A4105
	v_exp_f32_e32 v6, v6                                       // 000000006F20: 7E0C4106
	v_exp_f32_e32 v7, v7                                       // 000000006F24: 7E0E4107
	v_add_f32_e64 v4, v4, 1.0                                  // 000000006F28: D1010004 0001E504
	v_add_f32_e64 v5, v5, 1.0                                  // 000000006F30: D1010005 0001E505
	v_add_f32_e64 v6, v6, 1.0                                  // 000000006F38: D1010006 0001E506
	v_add_f32_e64 v7, v7, 1.0                                  // 000000006F40: D1010007 0001E507
	v_rcp_f32_e32 v4, v4                                       // 000000006F48: 7E084504
	v_rcp_f32_e32 v5, v5                                       // 000000006F4C: 7E0A4505
	v_rcp_f32_e32 v6, v6                                       // 000000006F50: 7E0C4506
	v_rcp_f32_e32 v7, v7                                       // 000000006F54: 7E0E4507
	v_mul_f32_e32 v140, v140, v4                               // 000000006F58: 0B18098C
	v_mul_f32_e32 v141, v141, v5                               // 000000006F5C: 0B1A0B8D
	v_mul_f32_e32 v142, v142, v6                               // 000000006F60: 0B1C0D8E
	v_mul_f32_e32 v143, v143, v7                               // 000000006F64: 0B1E0F8F
	v_mul_f32_e32 v140, v140, v204                             // 000000006F68: 0B19998C
	v_mul_f32_e32 v141, v141, v205                             // 000000006F6C: 0B1B9B8D
	v_mul_f32_e32 v142, v142, v206                             // 000000006F70: 0B1D9D8E
	v_mul_f32_e32 v143, v143, v207                             // 000000006F74: 0B1F9F8F
	s_branch label_135F                                        // 000000006F78: BF820200

0000000000006f7c <label_115F>:
	v_mul_f32_e64 v4, -v80, s6                                 // 000000006F7C: D1050004 20000D50
	v_mul_f32_e64 v5, -v81, s6                                 // 000000006F84: D1050005 20000D51
	v_mul_f32_e64 v6, -v82, s6                                 // 000000006F8C: D1050006 20000D52
	v_mul_f32_e64 v7, -v83, s6                                 // 000000006F94: D1050007 20000D53
	v_exp_f32_e32 v4, v4                                       // 000000006F9C: 7E084104
	v_exp_f32_e32 v5, v5                                       // 000000006FA0: 7E0A4105
	v_exp_f32_e32 v6, v6                                       // 000000006FA4: 7E0C4106
	v_exp_f32_e32 v7, v7                                       // 000000006FA8: 7E0E4107
	v_add_f32_e64 v4, v4, 1.0                                  // 000000006FAC: D1010004 0001E504
	v_add_f32_e64 v5, v5, 1.0                                  // 000000006FB4: D1010005 0001E505
	v_add_f32_e64 v6, v6, 1.0                                  // 000000006FBC: D1010006 0001E506
	v_add_f32_e64 v7, v7, 1.0                                  // 000000006FC4: D1010007 0001E507
	v_rcp_f32_e32 v4, v4                                       // 000000006FCC: 7E084504
	v_rcp_f32_e32 v5, v5                                       // 000000006FD0: 7E0A4505
	v_rcp_f32_e32 v6, v6                                       // 000000006FD4: 7E0C4506
	v_rcp_f32_e32 v7, v7                                       // 000000006FD8: 7E0E4507
	v_mul_f32_e32 v80, v80, v4                                 // 000000006FDC: 0AA00950
	v_mul_f32_e32 v81, v81, v5                                 // 000000006FE0: 0AA20B51
	v_mul_f32_e32 v82, v82, v6                                 // 000000006FE4: 0AA40D52
	v_mul_f32_e32 v83, v83, v7                                 // 000000006FE8: 0AA60F53
	v_mul_f32_e32 v80, v80, v144                               // 000000006FEC: 0AA12150
	v_mul_f32_e32 v81, v81, v145                               // 000000006FF0: 0AA32351
	v_mul_f32_e32 v82, v82, v146                               // 000000006FF4: 0AA52552
	v_mul_f32_e32 v83, v83, v147                               // 000000006FF8: 0AA72753
	v_mul_f32_e64 v4, -v84, s6                                 // 000000006FFC: D1050004 20000D54
	v_mul_f32_e64 v5, -v85, s6                                 // 000000007004: D1050005 20000D55
	v_mul_f32_e64 v6, -v86, s6                                 // 00000000700C: D1050006 20000D56
	v_mul_f32_e64 v7, -v87, s6                                 // 000000007014: D1050007 20000D57
	v_exp_f32_e32 v4, v4                                       // 00000000701C: 7E084104
	v_exp_f32_e32 v5, v5                                       // 000000007020: 7E0A4105
	v_exp_f32_e32 v6, v6                                       // 000000007024: 7E0C4106
	v_exp_f32_e32 v7, v7                                       // 000000007028: 7E0E4107
	v_add_f32_e64 v4, v4, 1.0                                  // 00000000702C: D1010004 0001E504
	v_add_f32_e64 v5, v5, 1.0                                  // 000000007034: D1010005 0001E505
	v_add_f32_e64 v6, v6, 1.0                                  // 00000000703C: D1010006 0001E506
	v_add_f32_e64 v7, v7, 1.0                                  // 000000007044: D1010007 0001E507
	v_rcp_f32_e32 v4, v4                                       // 00000000704C: 7E084504
	v_rcp_f32_e32 v5, v5                                       // 000000007050: 7E0A4505
	v_rcp_f32_e32 v6, v6                                       // 000000007054: 7E0C4506
	v_rcp_f32_e32 v7, v7                                       // 000000007058: 7E0E4507
	v_mul_f32_e32 v84, v84, v4                                 // 00000000705C: 0AA80954
	v_mul_f32_e32 v85, v85, v5                                 // 000000007060: 0AAA0B55
	v_mul_f32_e32 v86, v86, v6                                 // 000000007064: 0AAC0D56
	v_mul_f32_e32 v87, v87, v7                                 // 000000007068: 0AAE0F57
	v_mul_f32_e32 v84, v84, v148                               // 00000000706C: 0AA92954
	v_mul_f32_e32 v85, v85, v149                               // 000000007070: 0AAB2B55
	v_mul_f32_e32 v86, v86, v150                               // 000000007074: 0AAD2D56
	v_mul_f32_e32 v87, v87, v151                               // 000000007078: 0AAF2F57
	v_mul_f32_e64 v4, -v88, s6                                 // 00000000707C: D1050004 20000D58
	v_mul_f32_e64 v5, -v89, s6                                 // 000000007084: D1050005 20000D59
	v_mul_f32_e64 v6, -v90, s6                                 // 00000000708C: D1050006 20000D5A
	v_mul_f32_e64 v7, -v91, s6                                 // 000000007094: D1050007 20000D5B
	v_exp_f32_e32 v4, v4                                       // 00000000709C: 7E084104
	v_exp_f32_e32 v5, v5                                       // 0000000070A0: 7E0A4105
	v_exp_f32_e32 v6, v6                                       // 0000000070A4: 7E0C4106
	v_exp_f32_e32 v7, v7                                       // 0000000070A8: 7E0E4107
	v_add_f32_e64 v4, v4, 1.0                                  // 0000000070AC: D1010004 0001E504
	v_add_f32_e64 v5, v5, 1.0                                  // 0000000070B4: D1010005 0001E505
	v_add_f32_e64 v6, v6, 1.0                                  // 0000000070BC: D1010006 0001E506
	v_add_f32_e64 v7, v7, 1.0                                  // 0000000070C4: D1010007 0001E507
	v_rcp_f32_e32 v4, v4                                       // 0000000070CC: 7E084504
	v_rcp_f32_e32 v5, v5                                       // 0000000070D0: 7E0A4505
	v_rcp_f32_e32 v6, v6                                       // 0000000070D4: 7E0C4506
	v_rcp_f32_e32 v7, v7                                       // 0000000070D8: 7E0E4507
	v_mul_f32_e32 v88, v88, v4                                 // 0000000070DC: 0AB00958
	v_mul_f32_e32 v89, v89, v5                                 // 0000000070E0: 0AB20B59
	v_mul_f32_e32 v90, v90, v6                                 // 0000000070E4: 0AB40D5A
	v_mul_f32_e32 v91, v91, v7                                 // 0000000070E8: 0AB60F5B
	v_mul_f32_e32 v88, v88, v152                               // 0000000070EC: 0AB13158
	v_mul_f32_e32 v89, v89, v153                               // 0000000070F0: 0AB33359
	v_mul_f32_e32 v90, v90, v154                               // 0000000070F4: 0AB5355A
	v_mul_f32_e32 v91, v91, v155                               // 0000000070F8: 0AB7375B
	v_mul_f32_e64 v4, -v92, s6                                 // 0000000070FC: D1050004 20000D5C
	v_mul_f32_e64 v5, -v93, s6                                 // 000000007104: D1050005 20000D5D
	v_mul_f32_e64 v6, -v94, s6                                 // 00000000710C: D1050006 20000D5E
	v_mul_f32_e64 v7, -v95, s6                                 // 000000007114: D1050007 20000D5F
	v_exp_f32_e32 v4, v4                                       // 00000000711C: 7E084104
	v_exp_f32_e32 v5, v5                                       // 000000007120: 7E0A4105
	v_exp_f32_e32 v6, v6                                       // 000000007124: 7E0C4106
	v_exp_f32_e32 v7, v7                                       // 000000007128: 7E0E4107
	v_add_f32_e64 v4, v4, 1.0                                  // 00000000712C: D1010004 0001E504
	v_add_f32_e64 v5, v5, 1.0                                  // 000000007134: D1010005 0001E505
	v_add_f32_e64 v6, v6, 1.0                                  // 00000000713C: D1010006 0001E506
	v_add_f32_e64 v7, v7, 1.0                                  // 000000007144: D1010007 0001E507
	v_rcp_f32_e32 v4, v4                                       // 00000000714C: 7E084504
	v_rcp_f32_e32 v5, v5                                       // 000000007150: 7E0A4505
	v_rcp_f32_e32 v6, v6                                       // 000000007154: 7E0C4506
	v_rcp_f32_e32 v7, v7                                       // 000000007158: 7E0E4507
	v_mul_f32_e32 v92, v92, v4                                 // 00000000715C: 0AB8095C
	v_mul_f32_e32 v93, v93, v5                                 // 000000007160: 0ABA0B5D
	v_mul_f32_e32 v94, v94, v6                                 // 000000007164: 0ABC0D5E
	v_mul_f32_e32 v95, v95, v7                                 // 000000007168: 0ABE0F5F
	v_mul_f32_e32 v92, v92, v156                               // 00000000716C: 0AB9395C
	v_mul_f32_e32 v93, v93, v157                               // 000000007170: 0ABB3B5D
	v_mul_f32_e32 v94, v94, v158                               // 000000007174: 0ABD3D5E
	v_mul_f32_e32 v95, v95, v159                               // 000000007178: 0ABF3F5F
	v_mul_f32_e64 v4, -v96, s6                                 // 00000000717C: D1050004 20000D60
	v_mul_f32_e64 v5, -v97, s6                                 // 000000007184: D1050005 20000D61
	v_mul_f32_e64 v6, -v98, s6                                 // 00000000718C: D1050006 20000D62
	v_mul_f32_e64 v7, -v99, s6                                 // 000000007194: D1050007 20000D63
	v_exp_f32_e32 v4, v4                                       // 00000000719C: 7E084104
	v_exp_f32_e32 v5, v5                                       // 0000000071A0: 7E0A4105
	v_exp_f32_e32 v6, v6                                       // 0000000071A4: 7E0C4106
	v_exp_f32_e32 v7, v7                                       // 0000000071A8: 7E0E4107
	v_add_f32_e64 v4, v4, 1.0                                  // 0000000071AC: D1010004 0001E504
	v_add_f32_e64 v5, v5, 1.0                                  // 0000000071B4: D1010005 0001E505
	v_add_f32_e64 v6, v6, 1.0                                  // 0000000071BC: D1010006 0001E506
	v_add_f32_e64 v7, v7, 1.0                                  // 0000000071C4: D1010007 0001E507
	v_rcp_f32_e32 v4, v4                                       // 0000000071CC: 7E084504
	v_rcp_f32_e32 v5, v5                                       // 0000000071D0: 7E0A4505
	v_rcp_f32_e32 v6, v6                                       // 0000000071D4: 7E0C4506
	v_rcp_f32_e32 v7, v7                                       // 0000000071D8: 7E0E4507
	v_mul_f32_e32 v96, v96, v4                                 // 0000000071DC: 0AC00960
	v_mul_f32_e32 v97, v97, v5                                 // 0000000071E0: 0AC20B61
	v_mul_f32_e32 v98, v98, v6                                 // 0000000071E4: 0AC40D62
	v_mul_f32_e32 v99, v99, v7                                 // 0000000071E8: 0AC60F63
	v_mul_f32_e32 v96, v96, v160                               // 0000000071EC: 0AC14160
	v_mul_f32_e32 v97, v97, v161                               // 0000000071F0: 0AC34361
	v_mul_f32_e32 v98, v98, v162                               // 0000000071F4: 0AC54562
	v_mul_f32_e32 v99, v99, v163                               // 0000000071F8: 0AC74763
	v_mul_f32_e64 v4, -v100, s6                                // 0000000071FC: D1050004 20000D64
	v_mul_f32_e64 v5, -v101, s6                                // 000000007204: D1050005 20000D65
	v_mul_f32_e64 v6, -v102, s6                                // 00000000720C: D1050006 20000D66
	v_mul_f32_e64 v7, -v103, s6                                // 000000007214: D1050007 20000D67
	v_exp_f32_e32 v4, v4                                       // 00000000721C: 7E084104
	v_exp_f32_e32 v5, v5                                       // 000000007220: 7E0A4105
	v_exp_f32_e32 v6, v6                                       // 000000007224: 7E0C4106
	v_exp_f32_e32 v7, v7                                       // 000000007228: 7E0E4107
	v_add_f32_e64 v4, v4, 1.0                                  // 00000000722C: D1010004 0001E504
	v_add_f32_e64 v5, v5, 1.0                                  // 000000007234: D1010005 0001E505
	v_add_f32_e64 v6, v6, 1.0                                  // 00000000723C: D1010006 0001E506
	v_add_f32_e64 v7, v7, 1.0                                  // 000000007244: D1010007 0001E507
	v_rcp_f32_e32 v4, v4                                       // 00000000724C: 7E084504
	v_rcp_f32_e32 v5, v5                                       // 000000007250: 7E0A4505
	v_rcp_f32_e32 v6, v6                                       // 000000007254: 7E0C4506
	v_rcp_f32_e32 v7, v7                                       // 000000007258: 7E0E4507
	v_mul_f32_e32 v100, v100, v4                               // 00000000725C: 0AC80964
	v_mul_f32_e32 v101, v101, v5                               // 000000007260: 0ACA0B65
	v_mul_f32_e32 v102, v102, v6                               // 000000007264: 0ACC0D66
	v_mul_f32_e32 v103, v103, v7                               // 000000007268: 0ACE0F67
	v_mul_f32_e32 v100, v100, v164                             // 00000000726C: 0AC94964
	v_mul_f32_e32 v101, v101, v165                             // 000000007270: 0ACB4B65
	v_mul_f32_e32 v102, v102, v166                             // 000000007274: 0ACD4D66
	v_mul_f32_e32 v103, v103, v167                             // 000000007278: 0ACF4F67
	v_mul_f32_e64 v4, -v104, s6                                // 00000000727C: D1050004 20000D68
	v_mul_f32_e64 v5, -v105, s6                                // 000000007284: D1050005 20000D69
	v_mul_f32_e64 v6, -v106, s6                                // 00000000728C: D1050006 20000D6A
	v_mul_f32_e64 v7, -v107, s6                                // 000000007294: D1050007 20000D6B
	v_exp_f32_e32 v4, v4                                       // 00000000729C: 7E084104
	v_exp_f32_e32 v5, v5                                       // 0000000072A0: 7E0A4105
	v_exp_f32_e32 v6, v6                                       // 0000000072A4: 7E0C4106
	v_exp_f32_e32 v7, v7                                       // 0000000072A8: 7E0E4107
	v_add_f32_e64 v4, v4, 1.0                                  // 0000000072AC: D1010004 0001E504
	v_add_f32_e64 v5, v5, 1.0                                  // 0000000072B4: D1010005 0001E505
	v_add_f32_e64 v6, v6, 1.0                                  // 0000000072BC: D1010006 0001E506
	v_add_f32_e64 v7, v7, 1.0                                  // 0000000072C4: D1010007 0001E507
	v_rcp_f32_e32 v4, v4                                       // 0000000072CC: 7E084504
	v_rcp_f32_e32 v5, v5                                       // 0000000072D0: 7E0A4505
	v_rcp_f32_e32 v6, v6                                       // 0000000072D4: 7E0C4506
	v_rcp_f32_e32 v7, v7                                       // 0000000072D8: 7E0E4507
	v_mul_f32_e32 v104, v104, v4                               // 0000000072DC: 0AD00968
	v_mul_f32_e32 v105, v105, v5                               // 0000000072E0: 0AD20B69
	v_mul_f32_e32 v106, v106, v6                               // 0000000072E4: 0AD40D6A
	v_mul_f32_e32 v107, v107, v7                               // 0000000072E8: 0AD60F6B
	v_mul_f32_e32 v104, v104, v168                             // 0000000072EC: 0AD15168
	v_mul_f32_e32 v105, v105, v169                             // 0000000072F0: 0AD35369
	v_mul_f32_e32 v106, v106, v170                             // 0000000072F4: 0AD5556A
	v_mul_f32_e32 v107, v107, v171                             // 0000000072F8: 0AD7576B
	v_mul_f32_e64 v4, -v108, s6                                // 0000000072FC: D1050004 20000D6C
	v_mul_f32_e64 v5, -v109, s6                                // 000000007304: D1050005 20000D6D
	v_mul_f32_e64 v6, -v110, s6                                // 00000000730C: D1050006 20000D6E
	v_mul_f32_e64 v7, -v111, s6                                // 000000007314: D1050007 20000D6F
	v_exp_f32_e32 v4, v4                                       // 00000000731C: 7E084104
	v_exp_f32_e32 v5, v5                                       // 000000007320: 7E0A4105
	v_exp_f32_e32 v6, v6                                       // 000000007324: 7E0C4106
	v_exp_f32_e32 v7, v7                                       // 000000007328: 7E0E4107
	v_add_f32_e64 v4, v4, 1.0                                  // 00000000732C: D1010004 0001E504
	v_add_f32_e64 v5, v5, 1.0                                  // 000000007334: D1010005 0001E505
	v_add_f32_e64 v6, v6, 1.0                                  // 00000000733C: D1010006 0001E506
	v_add_f32_e64 v7, v7, 1.0                                  // 000000007344: D1010007 0001E507
	v_rcp_f32_e32 v4, v4                                       // 00000000734C: 7E084504
	v_rcp_f32_e32 v5, v5                                       // 000000007350: 7E0A4505
	v_rcp_f32_e32 v6, v6                                       // 000000007354: 7E0C4506
	v_rcp_f32_e32 v7, v7                                       // 000000007358: 7E0E4507
	v_mul_f32_e32 v108, v108, v4                               // 00000000735C: 0AD8096C
	v_mul_f32_e32 v109, v109, v5                               // 000000007360: 0ADA0B6D
	v_mul_f32_e32 v110, v110, v6                               // 000000007364: 0ADC0D6E
	v_mul_f32_e32 v111, v111, v7                               // 000000007368: 0ADE0F6F
	v_mul_f32_e32 v108, v108, v172                             // 00000000736C: 0AD9596C
	v_mul_f32_e32 v109, v109, v173                             // 000000007370: 0ADB5B6D
	v_mul_f32_e32 v110, v110, v174                             // 000000007374: 0ADD5D6E
	v_mul_f32_e32 v111, v111, v175                             // 000000007378: 0ADF5F6F
	v_mul_f32_e64 v4, -v112, s6                                // 00000000737C: D1050004 20000D70
	v_mul_f32_e64 v5, -v113, s6                                // 000000007384: D1050005 20000D71
	v_mul_f32_e64 v6, -v114, s6                                // 00000000738C: D1050006 20000D72
	v_mul_f32_e64 v7, -v115, s6                                // 000000007394: D1050007 20000D73
	v_exp_f32_e32 v4, v4                                       // 00000000739C: 7E084104
	v_exp_f32_e32 v5, v5                                       // 0000000073A0: 7E0A4105
	v_exp_f32_e32 v6, v6                                       // 0000000073A4: 7E0C4106
	v_exp_f32_e32 v7, v7                                       // 0000000073A8: 7E0E4107
	v_add_f32_e64 v4, v4, 1.0                                  // 0000000073AC: D1010004 0001E504
	v_add_f32_e64 v5, v5, 1.0                                  // 0000000073B4: D1010005 0001E505
	v_add_f32_e64 v6, v6, 1.0                                  // 0000000073BC: D1010006 0001E506
	v_add_f32_e64 v7, v7, 1.0                                  // 0000000073C4: D1010007 0001E507
	v_rcp_f32_e32 v4, v4                                       // 0000000073CC: 7E084504
	v_rcp_f32_e32 v5, v5                                       // 0000000073D0: 7E0A4505
	v_rcp_f32_e32 v6, v6                                       // 0000000073D4: 7E0C4506
	v_rcp_f32_e32 v7, v7                                       // 0000000073D8: 7E0E4507
	v_mul_f32_e32 v112, v112, v4                               // 0000000073DC: 0AE00970
	v_mul_f32_e32 v113, v113, v5                               // 0000000073E0: 0AE20B71
	v_mul_f32_e32 v114, v114, v6                               // 0000000073E4: 0AE40D72
	v_mul_f32_e32 v115, v115, v7                               // 0000000073E8: 0AE60F73
	v_mul_f32_e32 v112, v112, v176                             // 0000000073EC: 0AE16170
	v_mul_f32_e32 v113, v113, v177                             // 0000000073F0: 0AE36371
	v_mul_f32_e32 v114, v114, v178                             // 0000000073F4: 0AE56572
	v_mul_f32_e32 v115, v115, v179                             // 0000000073F8: 0AE76773
	v_mul_f32_e64 v4, -v116, s6                                // 0000000073FC: D1050004 20000D74
	v_mul_f32_e64 v5, -v117, s6                                // 000000007404: D1050005 20000D75
	v_mul_f32_e64 v6, -v118, s6                                // 00000000740C: D1050006 20000D76
	v_mul_f32_e64 v7, -v119, s6                                // 000000007414: D1050007 20000D77
	v_exp_f32_e32 v4, v4                                       // 00000000741C: 7E084104
	v_exp_f32_e32 v5, v5                                       // 000000007420: 7E0A4105
	v_exp_f32_e32 v6, v6                                       // 000000007424: 7E0C4106
	v_exp_f32_e32 v7, v7                                       // 000000007428: 7E0E4107
	v_add_f32_e64 v4, v4, 1.0                                  // 00000000742C: D1010004 0001E504
	v_add_f32_e64 v5, v5, 1.0                                  // 000000007434: D1010005 0001E505
	v_add_f32_e64 v6, v6, 1.0                                  // 00000000743C: D1010006 0001E506
	v_add_f32_e64 v7, v7, 1.0                                  // 000000007444: D1010007 0001E507
	v_rcp_f32_e32 v4, v4                                       // 00000000744C: 7E084504
	v_rcp_f32_e32 v5, v5                                       // 000000007450: 7E0A4505
	v_rcp_f32_e32 v6, v6                                       // 000000007454: 7E0C4506
	v_rcp_f32_e32 v7, v7                                       // 000000007458: 7E0E4507
	v_mul_f32_e32 v116, v116, v4                               // 00000000745C: 0AE80974
	v_mul_f32_e32 v117, v117, v5                               // 000000007460: 0AEA0B75
	v_mul_f32_e32 v118, v118, v6                               // 000000007464: 0AEC0D76
	v_mul_f32_e32 v119, v119, v7                               // 000000007468: 0AEE0F77
	v_mul_f32_e32 v116, v116, v180                             // 00000000746C: 0AE96974
	v_mul_f32_e32 v117, v117, v181                             // 000000007470: 0AEB6B75
	v_mul_f32_e32 v118, v118, v182                             // 000000007474: 0AED6D76
	v_mul_f32_e32 v119, v119, v183                             // 000000007478: 0AEF6F77
	v_mul_f32_e64 v4, -v120, s6                                // 00000000747C: D1050004 20000D78
	v_mul_f32_e64 v5, -v121, s6                                // 000000007484: D1050005 20000D79
	v_mul_f32_e64 v6, -v122, s6                                // 00000000748C: D1050006 20000D7A
	v_mul_f32_e64 v7, -v123, s6                                // 000000007494: D1050007 20000D7B
	v_exp_f32_e32 v4, v4                                       // 00000000749C: 7E084104
	v_exp_f32_e32 v5, v5                                       // 0000000074A0: 7E0A4105
	v_exp_f32_e32 v6, v6                                       // 0000000074A4: 7E0C4106
	v_exp_f32_e32 v7, v7                                       // 0000000074A8: 7E0E4107
	v_add_f32_e64 v4, v4, 1.0                                  // 0000000074AC: D1010004 0001E504
	v_add_f32_e64 v5, v5, 1.0                                  // 0000000074B4: D1010005 0001E505
	v_add_f32_e64 v6, v6, 1.0                                  // 0000000074BC: D1010006 0001E506
	v_add_f32_e64 v7, v7, 1.0                                  // 0000000074C4: D1010007 0001E507
	v_rcp_f32_e32 v4, v4                                       // 0000000074CC: 7E084504
	v_rcp_f32_e32 v5, v5                                       // 0000000074D0: 7E0A4505
	v_rcp_f32_e32 v6, v6                                       // 0000000074D4: 7E0C4506
	v_rcp_f32_e32 v7, v7                                       // 0000000074D8: 7E0E4507
	v_mul_f32_e32 v120, v120, v4                               // 0000000074DC: 0AF00978
	v_mul_f32_e32 v121, v121, v5                               // 0000000074E0: 0AF20B79
	v_mul_f32_e32 v122, v122, v6                               // 0000000074E4: 0AF40D7A
	v_mul_f32_e32 v123, v123, v7                               // 0000000074E8: 0AF60F7B
	v_mul_f32_e32 v120, v120, v184                             // 0000000074EC: 0AF17178
	v_mul_f32_e32 v121, v121, v185                             // 0000000074F0: 0AF37379
	v_mul_f32_e32 v122, v122, v186                             // 0000000074F4: 0AF5757A
	v_mul_f32_e32 v123, v123, v187                             // 0000000074F8: 0AF7777B
	v_mul_f32_e64 v4, -v124, s6                                // 0000000074FC: D1050004 20000D7C
	v_mul_f32_e64 v5, -v125, s6                                // 000000007504: D1050005 20000D7D
	v_mul_f32_e64 v6, -v126, s6                                // 00000000750C: D1050006 20000D7E
	v_mul_f32_e64 v7, -v127, s6                                // 000000007514: D1050007 20000D7F
	v_exp_f32_e32 v4, v4                                       // 00000000751C: 7E084104
	v_exp_f32_e32 v5, v5                                       // 000000007520: 7E0A4105
	v_exp_f32_e32 v6, v6                                       // 000000007524: 7E0C4106
	v_exp_f32_e32 v7, v7                                       // 000000007528: 7E0E4107
	v_add_f32_e64 v4, v4, 1.0                                  // 00000000752C: D1010004 0001E504
	v_add_f32_e64 v5, v5, 1.0                                  // 000000007534: D1010005 0001E505
	v_add_f32_e64 v6, v6, 1.0                                  // 00000000753C: D1010006 0001E506
	v_add_f32_e64 v7, v7, 1.0                                  // 000000007544: D1010007 0001E507
	v_rcp_f32_e32 v4, v4                                       // 00000000754C: 7E084504
	v_rcp_f32_e32 v5, v5                                       // 000000007550: 7E0A4505
	v_rcp_f32_e32 v6, v6                                       // 000000007554: 7E0C4506
	v_rcp_f32_e32 v7, v7                                       // 000000007558: 7E0E4507
	v_mul_f32_e32 v124, v124, v4                               // 00000000755C: 0AF8097C
	v_mul_f32_e32 v125, v125, v5                               // 000000007560: 0AFA0B7D
	v_mul_f32_e32 v126, v126, v6                               // 000000007564: 0AFC0D7E
	v_mul_f32_e32 v127, v127, v7                               // 000000007568: 0AFE0F7F
	v_mul_f32_e32 v124, v124, v188                             // 00000000756C: 0AF9797C
	v_mul_f32_e32 v125, v125, v189                             // 000000007570: 0AFB7B7D
	v_mul_f32_e32 v126, v126, v190                             // 000000007574: 0AFD7D7E
	v_mul_f32_e32 v127, v127, v191                             // 000000007578: 0AFF7F7F
	v_mul_f32_e64 v4, -v128, s6                                // 00000000757C: D1050004 20000D80
	v_mul_f32_e64 v5, -v129, s6                                // 000000007584: D1050005 20000D81
	v_mul_f32_e64 v6, -v130, s6                                // 00000000758C: D1050006 20000D82
	v_mul_f32_e64 v7, -v131, s6                                // 000000007594: D1050007 20000D83
	v_exp_f32_e32 v4, v4                                       // 00000000759C: 7E084104
	v_exp_f32_e32 v5, v5                                       // 0000000075A0: 7E0A4105
	v_exp_f32_e32 v6, v6                                       // 0000000075A4: 7E0C4106
	v_exp_f32_e32 v7, v7                                       // 0000000075A8: 7E0E4107
	v_add_f32_e64 v4, v4, 1.0                                  // 0000000075AC: D1010004 0001E504
	v_add_f32_e64 v5, v5, 1.0                                  // 0000000075B4: D1010005 0001E505
	v_add_f32_e64 v6, v6, 1.0                                  // 0000000075BC: D1010006 0001E506
	v_add_f32_e64 v7, v7, 1.0                                  // 0000000075C4: D1010007 0001E507
	v_rcp_f32_e32 v4, v4                                       // 0000000075CC: 7E084504
	v_rcp_f32_e32 v5, v5                                       // 0000000075D0: 7E0A4505
	v_rcp_f32_e32 v6, v6                                       // 0000000075D4: 7E0C4506
	v_rcp_f32_e32 v7, v7                                       // 0000000075D8: 7E0E4507
	v_mul_f32_e32 v128, v128, v4                               // 0000000075DC: 0B000980
	v_mul_f32_e32 v129, v129, v5                               // 0000000075E0: 0B020B81
	v_mul_f32_e32 v130, v130, v6                               // 0000000075E4: 0B040D82
	v_mul_f32_e32 v131, v131, v7                               // 0000000075E8: 0B060F83
	v_mul_f32_e32 v128, v128, v192                             // 0000000075EC: 0B018180
	v_mul_f32_e32 v129, v129, v193                             // 0000000075F0: 0B038381
	v_mul_f32_e32 v130, v130, v194                             // 0000000075F4: 0B058582
	v_mul_f32_e32 v131, v131, v195                             // 0000000075F8: 0B078783
	v_mul_f32_e64 v4, -v132, s6                                // 0000000075FC: D1050004 20000D84
	v_mul_f32_e64 v5, -v133, s6                                // 000000007604: D1050005 20000D85
	v_mul_f32_e64 v6, -v134, s6                                // 00000000760C: D1050006 20000D86
	v_mul_f32_e64 v7, -v135, s6                                // 000000007614: D1050007 20000D87
	v_exp_f32_e32 v4, v4                                       // 00000000761C: 7E084104
	v_exp_f32_e32 v5, v5                                       // 000000007620: 7E0A4105
	v_exp_f32_e32 v6, v6                                       // 000000007624: 7E0C4106
	v_exp_f32_e32 v7, v7                                       // 000000007628: 7E0E4107
	v_add_f32_e64 v4, v4, 1.0                                  // 00000000762C: D1010004 0001E504
	v_add_f32_e64 v5, v5, 1.0                                  // 000000007634: D1010005 0001E505
	v_add_f32_e64 v6, v6, 1.0                                  // 00000000763C: D1010006 0001E506
	v_add_f32_e64 v7, v7, 1.0                                  // 000000007644: D1010007 0001E507
	v_rcp_f32_e32 v4, v4                                       // 00000000764C: 7E084504
	v_rcp_f32_e32 v5, v5                                       // 000000007650: 7E0A4505
	v_rcp_f32_e32 v6, v6                                       // 000000007654: 7E0C4506
	v_rcp_f32_e32 v7, v7                                       // 000000007658: 7E0E4507
	v_mul_f32_e32 v132, v132, v4                               // 00000000765C: 0B080984
	v_mul_f32_e32 v133, v133, v5                               // 000000007660: 0B0A0B85
	v_mul_f32_e32 v134, v134, v6                               // 000000007664: 0B0C0D86
	v_mul_f32_e32 v135, v135, v7                               // 000000007668: 0B0E0F87
	v_mul_f32_e32 v132, v132, v196                             // 00000000766C: 0B098984
	v_mul_f32_e32 v133, v133, v197                             // 000000007670: 0B0B8B85
	v_mul_f32_e32 v134, v134, v198                             // 000000007674: 0B0D8D86
	v_mul_f32_e32 v135, v135, v199                             // 000000007678: 0B0F8F87
	v_mul_f32_e64 v4, -v136, s6                                // 00000000767C: D1050004 20000D88
	v_mul_f32_e64 v5, -v137, s6                                // 000000007684: D1050005 20000D89
	v_mul_f32_e64 v6, -v138, s6                                // 00000000768C: D1050006 20000D8A
	v_mul_f32_e64 v7, -v139, s6                                // 000000007694: D1050007 20000D8B
	v_exp_f32_e32 v4, v4                                       // 00000000769C: 7E084104
	v_exp_f32_e32 v5, v5                                       // 0000000076A0: 7E0A4105
	v_exp_f32_e32 v6, v6                                       // 0000000076A4: 7E0C4106
	v_exp_f32_e32 v7, v7                                       // 0000000076A8: 7E0E4107
	v_add_f32_e64 v4, v4, 1.0                                  // 0000000076AC: D1010004 0001E504
	v_add_f32_e64 v5, v5, 1.0                                  // 0000000076B4: D1010005 0001E505
	v_add_f32_e64 v6, v6, 1.0                                  // 0000000076BC: D1010006 0001E506
	v_add_f32_e64 v7, v7, 1.0                                  // 0000000076C4: D1010007 0001E507
	v_rcp_f32_e32 v4, v4                                       // 0000000076CC: 7E084504
	v_rcp_f32_e32 v5, v5                                       // 0000000076D0: 7E0A4505
	v_rcp_f32_e32 v6, v6                                       // 0000000076D4: 7E0C4506
	v_rcp_f32_e32 v7, v7                                       // 0000000076D8: 7E0E4507
	v_mul_f32_e32 v136, v136, v4                               // 0000000076DC: 0B100988
	v_mul_f32_e32 v137, v137, v5                               // 0000000076E0: 0B120B89
	v_mul_f32_e32 v138, v138, v6                               // 0000000076E4: 0B140D8A
	v_mul_f32_e32 v139, v139, v7                               // 0000000076E8: 0B160F8B
	v_mul_f32_e32 v136, v136, v200                             // 0000000076EC: 0B119188
	v_mul_f32_e32 v137, v137, v201                             // 0000000076F0: 0B139389
	v_mul_f32_e32 v138, v138, v202                             // 0000000076F4: 0B15958A
	v_mul_f32_e32 v139, v139, v203                             // 0000000076F8: 0B17978B
	v_mul_f32_e64 v4, -v140, s6                                // 0000000076FC: D1050004 20000D8C
	v_mul_f32_e64 v5, -v141, s6                                // 000000007704: D1050005 20000D8D
	v_mul_f32_e64 v6, -v142, s6                                // 00000000770C: D1050006 20000D8E
	v_mul_f32_e64 v7, -v143, s6                                // 000000007714: D1050007 20000D8F
	v_exp_f32_e32 v4, v4                                       // 00000000771C: 7E084104
	v_exp_f32_e32 v5, v5                                       // 000000007720: 7E0A4105
	v_exp_f32_e32 v6, v6                                       // 000000007724: 7E0C4106
	v_exp_f32_e32 v7, v7                                       // 000000007728: 7E0E4107
	v_add_f32_e64 v4, v4, 1.0                                  // 00000000772C: D1010004 0001E504
	v_add_f32_e64 v5, v5, 1.0                                  // 000000007734: D1010005 0001E505
	v_add_f32_e64 v6, v6, 1.0                                  // 00000000773C: D1010006 0001E506
	v_add_f32_e64 v7, v7, 1.0                                  // 000000007744: D1010007 0001E507
	v_rcp_f32_e32 v4, v4                                       // 00000000774C: 7E084504
	v_rcp_f32_e32 v5, v5                                       // 000000007750: 7E0A4505
	v_rcp_f32_e32 v6, v6                                       // 000000007754: 7E0C4506
	v_rcp_f32_e32 v7, v7                                       // 000000007758: 7E0E4507
	v_mul_f32_e32 v140, v140, v4                               // 00000000775C: 0B18098C
	v_mul_f32_e32 v141, v141, v5                               // 000000007760: 0B1A0B8D
	v_mul_f32_e32 v142, v142, v6                               // 000000007764: 0B1C0D8E
	v_mul_f32_e32 v143, v143, v7                               // 000000007768: 0B1E0F8F
	v_mul_f32_e32 v140, v140, v204                             // 00000000776C: 0B19998C
	v_mul_f32_e32 v141, v141, v205                             // 000000007770: 0B1B9B8D
	v_mul_f32_e32 v142, v142, v206                             // 000000007774: 0B1D9D8E
	v_mul_f32_e32 v143, v143, v207                             // 000000007778: 0B1F9F8F

000000000000777c <label_135F>:
	v_cmp_u_f32_e64 s[46:47], v80, v80                         // 00000000777C: D048002E 0002A150
	v_add3_u32 v16, v80, v19, 1                                // 000000007784: D1FF0010 02062750
	v_cndmask_b32_e64 v4, v16, v18, s[46:47]                   // 00000000778C: D1000004 00BA2510
	v_cmp_u_f32_e64 s[46:47], v81, v81                         // 000000007794: D048002E 0002A351
	v_add3_u32 v16, v81, v19, 1                                // 00000000779C: D1FF0010 02062751
	v_cndmask_b32_e64 v5, v16, v18, s[46:47]                   // 0000000077A4: D1000005 00BA2510
	v_perm_b32 v80, v5, v4, s52                                // 0000000077AC: D1ED0050 00D20905
	v_cmp_u_f32_e64 s[46:47], v82, v82                         // 0000000077B4: D048002E 0002A552
	v_add3_u32 v16, v82, v19, 1                                // 0000000077BC: D1FF0010 02062752
	v_cndmask_b32_e64 v4, v16, v18, s[46:47]                   // 0000000077C4: D1000004 00BA2510
	v_cmp_u_f32_e64 s[46:47], v83, v83                         // 0000000077CC: D048002E 0002A753
	v_add3_u32 v16, v83, v19, 1                                // 0000000077D4: D1FF0010 02062753
	v_cndmask_b32_e64 v5, v16, v18, s[46:47]                   // 0000000077DC: D1000005 00BA2510
	v_perm_b32 v81, v5, v4, s52                                // 0000000077E4: D1ED0051 00D20905
	v_cmp_u_f32_e64 s[46:47], v84, v84                         // 0000000077EC: D048002E 0002A954
	v_add3_u32 v16, v84, v19, 1                                // 0000000077F4: D1FF0010 02062754
	v_cndmask_b32_e64 v4, v16, v18, s[46:47]                   // 0000000077FC: D1000004 00BA2510
	v_cmp_u_f32_e64 s[46:47], v85, v85                         // 000000007804: D048002E 0002AB55
	v_add3_u32 v16, v85, v19, 1                                // 00000000780C: D1FF0010 02062755
	v_cndmask_b32_e64 v5, v16, v18, s[46:47]                   // 000000007814: D1000005 00BA2510
	v_perm_b32 v82, v5, v4, s52                                // 00000000781C: D1ED0052 00D20905
	v_cmp_u_f32_e64 s[46:47], v86, v86                         // 000000007824: D048002E 0002AD56
	v_add3_u32 v16, v86, v19, 1                                // 00000000782C: D1FF0010 02062756
	v_cndmask_b32_e64 v4, v16, v18, s[46:47]                   // 000000007834: D1000004 00BA2510
	v_cmp_u_f32_e64 s[46:47], v87, v87                         // 00000000783C: D048002E 0002AF57
	v_add3_u32 v16, v87, v19, 1                                // 000000007844: D1FF0010 02062757
	v_cndmask_b32_e64 v5, v16, v18, s[46:47]                   // 00000000784C: D1000005 00BA2510
	v_perm_b32 v83, v5, v4, s52                                // 000000007854: D1ED0053 00D20905
	v_cmp_u_f32_e64 s[46:47], v88, v88                         // 00000000785C: D048002E 0002B158
	v_add3_u32 v16, v88, v19, 1                                // 000000007864: D1FF0010 02062758
	v_cndmask_b32_e64 v4, v16, v18, s[46:47]                   // 00000000786C: D1000004 00BA2510
	v_cmp_u_f32_e64 s[46:47], v89, v89                         // 000000007874: D048002E 0002B359
	v_add3_u32 v16, v89, v19, 1                                // 00000000787C: D1FF0010 02062759
	v_cndmask_b32_e64 v5, v16, v18, s[46:47]                   // 000000007884: D1000005 00BA2510
	v_perm_b32 v84, v5, v4, s52                                // 00000000788C: D1ED0054 00D20905
	v_cmp_u_f32_e64 s[46:47], v90, v90                         // 000000007894: D048002E 0002B55A
	v_add3_u32 v16, v90, v19, 1                                // 00000000789C: D1FF0010 0206275A
	v_cndmask_b32_e64 v4, v16, v18, s[46:47]                   // 0000000078A4: D1000004 00BA2510
	v_cmp_u_f32_e64 s[46:47], v91, v91                         // 0000000078AC: D048002E 0002B75B
	v_add3_u32 v16, v91, v19, 1                                // 0000000078B4: D1FF0010 0206275B
	v_cndmask_b32_e64 v5, v16, v18, s[46:47]                   // 0000000078BC: D1000005 00BA2510
	v_perm_b32 v85, v5, v4, s52                                // 0000000078C4: D1ED0055 00D20905
	v_cmp_u_f32_e64 s[46:47], v92, v92                         // 0000000078CC: D048002E 0002B95C
	v_add3_u32 v16, v92, v19, 1                                // 0000000078D4: D1FF0010 0206275C
	v_cndmask_b32_e64 v4, v16, v18, s[46:47]                   // 0000000078DC: D1000004 00BA2510
	v_cmp_u_f32_e64 s[46:47], v93, v93                         // 0000000078E4: D048002E 0002BB5D
	v_add3_u32 v16, v93, v19, 1                                // 0000000078EC: D1FF0010 0206275D
	v_cndmask_b32_e64 v5, v16, v18, s[46:47]                   // 0000000078F4: D1000005 00BA2510
	v_perm_b32 v86, v5, v4, s52                                // 0000000078FC: D1ED0056 00D20905
	v_cmp_u_f32_e64 s[46:47], v94, v94                         // 000000007904: D048002E 0002BD5E
	v_add3_u32 v16, v94, v19, 1                                // 00000000790C: D1FF0010 0206275E
	v_cndmask_b32_e64 v4, v16, v18, s[46:47]                   // 000000007914: D1000004 00BA2510
	v_cmp_u_f32_e64 s[46:47], v95, v95                         // 00000000791C: D048002E 0002BF5F
	v_add3_u32 v16, v95, v19, 1                                // 000000007924: D1FF0010 0206275F
	v_cndmask_b32_e64 v5, v16, v18, s[46:47]                   // 00000000792C: D1000005 00BA2510
	v_perm_b32 v87, v5, v4, s52                                // 000000007934: D1ED0057 00D20905
	v_cmp_u_f32_e64 s[46:47], v96, v96                         // 00000000793C: D048002E 0002C160
	v_add3_u32 v16, v96, v19, 1                                // 000000007944: D1FF0010 02062760
	v_cndmask_b32_e64 v4, v16, v18, s[46:47]                   // 00000000794C: D1000004 00BA2510
	v_cmp_u_f32_e64 s[46:47], v97, v97                         // 000000007954: D048002E 0002C361
	v_add3_u32 v16, v97, v19, 1                                // 00000000795C: D1FF0010 02062761
	v_cndmask_b32_e64 v5, v16, v18, s[46:47]                   // 000000007964: D1000005 00BA2510
	v_perm_b32 v88, v5, v4, s52                                // 00000000796C: D1ED0058 00D20905
	v_cmp_u_f32_e64 s[46:47], v98, v98                         // 000000007974: D048002E 0002C562
	v_add3_u32 v16, v98, v19, 1                                // 00000000797C: D1FF0010 02062762
	v_cndmask_b32_e64 v4, v16, v18, s[46:47]                   // 000000007984: D1000004 00BA2510
	v_cmp_u_f32_e64 s[46:47], v99, v99                         // 00000000798C: D048002E 0002C763
	v_add3_u32 v16, v99, v19, 1                                // 000000007994: D1FF0010 02062763
	v_cndmask_b32_e64 v5, v16, v18, s[46:47]                   // 00000000799C: D1000005 00BA2510
	v_perm_b32 v89, v5, v4, s52                                // 0000000079A4: D1ED0059 00D20905
	v_cmp_u_f32_e64 s[46:47], v100, v100                       // 0000000079AC: D048002E 0002C964
	v_add3_u32 v16, v100, v19, 1                               // 0000000079B4: D1FF0010 02062764
	v_cndmask_b32_e64 v4, v16, v18, s[46:47]                   // 0000000079BC: D1000004 00BA2510
	v_cmp_u_f32_e64 s[46:47], v101, v101                       // 0000000079C4: D048002E 0002CB65
	v_add3_u32 v16, v101, v19, 1                               // 0000000079CC: D1FF0010 02062765
	v_cndmask_b32_e64 v5, v16, v18, s[46:47]                   // 0000000079D4: D1000005 00BA2510
	v_perm_b32 v90, v5, v4, s52                                // 0000000079DC: D1ED005A 00D20905
	v_cmp_u_f32_e64 s[46:47], v102, v102                       // 0000000079E4: D048002E 0002CD66
	v_add3_u32 v16, v102, v19, 1                               // 0000000079EC: D1FF0010 02062766
	v_cndmask_b32_e64 v4, v16, v18, s[46:47]                   // 0000000079F4: D1000004 00BA2510
	v_cmp_u_f32_e64 s[46:47], v103, v103                       // 0000000079FC: D048002E 0002CF67
	v_add3_u32 v16, v103, v19, 1                               // 000000007A04: D1FF0010 02062767
	v_cndmask_b32_e64 v5, v16, v18, s[46:47]                   // 000000007A0C: D1000005 00BA2510
	v_perm_b32 v91, v5, v4, s52                                // 000000007A14: D1ED005B 00D20905
	v_cmp_u_f32_e64 s[46:47], v104, v104                       // 000000007A1C: D048002E 0002D168
	v_add3_u32 v16, v104, v19, 1                               // 000000007A24: D1FF0010 02062768
	v_cndmask_b32_e64 v4, v16, v18, s[46:47]                   // 000000007A2C: D1000004 00BA2510
	v_cmp_u_f32_e64 s[46:47], v105, v105                       // 000000007A34: D048002E 0002D369
	v_add3_u32 v16, v105, v19, 1                               // 000000007A3C: D1FF0010 02062769
	v_cndmask_b32_e64 v5, v16, v18, s[46:47]                   // 000000007A44: D1000005 00BA2510
	v_perm_b32 v92, v5, v4, s52                                // 000000007A4C: D1ED005C 00D20905
	v_cmp_u_f32_e64 s[46:47], v106, v106                       // 000000007A54: D048002E 0002D56A
	v_add3_u32 v16, v106, v19, 1                               // 000000007A5C: D1FF0010 0206276A
	v_cndmask_b32_e64 v4, v16, v18, s[46:47]                   // 000000007A64: D1000004 00BA2510
	v_cmp_u_f32_e64 s[46:47], v107, v107                       // 000000007A6C: D048002E 0002D76B
	v_add3_u32 v16, v107, v19, 1                               // 000000007A74: D1FF0010 0206276B
	v_cndmask_b32_e64 v5, v16, v18, s[46:47]                   // 000000007A7C: D1000005 00BA2510
	v_perm_b32 v93, v5, v4, s52                                // 000000007A84: D1ED005D 00D20905
	v_cmp_u_f32_e64 s[46:47], v108, v108                       // 000000007A8C: D048002E 0002D96C
	v_add3_u32 v16, v108, v19, 1                               // 000000007A94: D1FF0010 0206276C
	v_cndmask_b32_e64 v4, v16, v18, s[46:47]                   // 000000007A9C: D1000004 00BA2510
	v_cmp_u_f32_e64 s[46:47], v109, v109                       // 000000007AA4: D048002E 0002DB6D
	v_add3_u32 v16, v109, v19, 1                               // 000000007AAC: D1FF0010 0206276D
	v_cndmask_b32_e64 v5, v16, v18, s[46:47]                   // 000000007AB4: D1000005 00BA2510
	v_perm_b32 v94, v5, v4, s52                                // 000000007ABC: D1ED005E 00D20905
	v_cmp_u_f32_e64 s[46:47], v110, v110                       // 000000007AC4: D048002E 0002DD6E
	v_add3_u32 v16, v110, v19, 1                               // 000000007ACC: D1FF0010 0206276E
	v_cndmask_b32_e64 v4, v16, v18, s[46:47]                   // 000000007AD4: D1000004 00BA2510
	v_cmp_u_f32_e64 s[46:47], v111, v111                       // 000000007ADC: D048002E 0002DF6F
	v_add3_u32 v16, v111, v19, 1                               // 000000007AE4: D1FF0010 0206276F
	v_cndmask_b32_e64 v5, v16, v18, s[46:47]                   // 000000007AEC: D1000005 00BA2510
	v_perm_b32 v95, v5, v4, s52                                // 000000007AF4: D1ED005F 00D20905
	v_cmp_u_f32_e64 s[46:47], v112, v112                       // 000000007AFC: D048002E 0002E170
	v_add3_u32 v16, v112, v19, 1                               // 000000007B04: D1FF0010 02062770
	v_cndmask_b32_e64 v4, v16, v18, s[46:47]                   // 000000007B0C: D1000004 00BA2510
	v_cmp_u_f32_e64 s[46:47], v113, v113                       // 000000007B14: D048002E 0002E371
	v_add3_u32 v16, v113, v19, 1                               // 000000007B1C: D1FF0010 02062771
	v_cndmask_b32_e64 v5, v16, v18, s[46:47]                   // 000000007B24: D1000005 00BA2510
	v_perm_b32 v96, v5, v4, s52                                // 000000007B2C: D1ED0060 00D20905
	v_cmp_u_f32_e64 s[46:47], v114, v114                       // 000000007B34: D048002E 0002E572
	v_add3_u32 v16, v114, v19, 1                               // 000000007B3C: D1FF0010 02062772
	v_cndmask_b32_e64 v4, v16, v18, s[46:47]                   // 000000007B44: D1000004 00BA2510
	v_cmp_u_f32_e64 s[46:47], v115, v115                       // 000000007B4C: D048002E 0002E773
	v_add3_u32 v16, v115, v19, 1                               // 000000007B54: D1FF0010 02062773
	v_cndmask_b32_e64 v5, v16, v18, s[46:47]                   // 000000007B5C: D1000005 00BA2510
	v_perm_b32 v97, v5, v4, s52                                // 000000007B64: D1ED0061 00D20905
	v_cmp_u_f32_e64 s[46:47], v116, v116                       // 000000007B6C: D048002E 0002E974
	v_add3_u32 v16, v116, v19, 1                               // 000000007B74: D1FF0010 02062774
	v_cndmask_b32_e64 v4, v16, v18, s[46:47]                   // 000000007B7C: D1000004 00BA2510
	v_cmp_u_f32_e64 s[46:47], v117, v117                       // 000000007B84: D048002E 0002EB75
	v_add3_u32 v16, v117, v19, 1                               // 000000007B8C: D1FF0010 02062775
	v_cndmask_b32_e64 v5, v16, v18, s[46:47]                   // 000000007B94: D1000005 00BA2510
	v_perm_b32 v98, v5, v4, s52                                // 000000007B9C: D1ED0062 00D20905
	v_cmp_u_f32_e64 s[46:47], v118, v118                       // 000000007BA4: D048002E 0002ED76
	v_add3_u32 v16, v118, v19, 1                               // 000000007BAC: D1FF0010 02062776
	v_cndmask_b32_e64 v4, v16, v18, s[46:47]                   // 000000007BB4: D1000004 00BA2510
	v_cmp_u_f32_e64 s[46:47], v119, v119                       // 000000007BBC: D048002E 0002EF77
	v_add3_u32 v16, v119, v19, 1                               // 000000007BC4: D1FF0010 02062777
	v_cndmask_b32_e64 v5, v16, v18, s[46:47]                   // 000000007BCC: D1000005 00BA2510
	v_perm_b32 v99, v5, v4, s52                                // 000000007BD4: D1ED0063 00D20905
	v_cmp_u_f32_e64 s[46:47], v120, v120                       // 000000007BDC: D048002E 0002F178
	v_add3_u32 v16, v120, v19, 1                               // 000000007BE4: D1FF0010 02062778
	v_cndmask_b32_e64 v4, v16, v18, s[46:47]                   // 000000007BEC: D1000004 00BA2510
	v_cmp_u_f32_e64 s[46:47], v121, v121                       // 000000007BF4: D048002E 0002F379
	v_add3_u32 v16, v121, v19, 1                               // 000000007BFC: D1FF0010 02062779
	v_cndmask_b32_e64 v5, v16, v18, s[46:47]                   // 000000007C04: D1000005 00BA2510
	v_perm_b32 v100, v5, v4, s52                               // 000000007C0C: D1ED0064 00D20905
	v_cmp_u_f32_e64 s[46:47], v122, v122                       // 000000007C14: D048002E 0002F57A
	v_add3_u32 v16, v122, v19, 1                               // 000000007C1C: D1FF0010 0206277A
	v_cndmask_b32_e64 v4, v16, v18, s[46:47]                   // 000000007C24: D1000004 00BA2510
	v_cmp_u_f32_e64 s[46:47], v123, v123                       // 000000007C2C: D048002E 0002F77B
	v_add3_u32 v16, v123, v19, 1                               // 000000007C34: D1FF0010 0206277B
	v_cndmask_b32_e64 v5, v16, v18, s[46:47]                   // 000000007C3C: D1000005 00BA2510
	v_perm_b32 v101, v5, v4, s52                               // 000000007C44: D1ED0065 00D20905
	v_cmp_u_f32_e64 s[46:47], v124, v124                       // 000000007C4C: D048002E 0002F97C
	v_add3_u32 v16, v124, v19, 1                               // 000000007C54: D1FF0010 0206277C
	v_cndmask_b32_e64 v4, v16, v18, s[46:47]                   // 000000007C5C: D1000004 00BA2510
	v_cmp_u_f32_e64 s[46:47], v125, v125                       // 000000007C64: D048002E 0002FB7D
	v_add3_u32 v16, v125, v19, 1                               // 000000007C6C: D1FF0010 0206277D
	v_cndmask_b32_e64 v5, v16, v18, s[46:47]                   // 000000007C74: D1000005 00BA2510
	v_perm_b32 v102, v5, v4, s52                               // 000000007C7C: D1ED0066 00D20905
	v_cmp_u_f32_e64 s[46:47], v126, v126                       // 000000007C84: D048002E 0002FD7E
	v_add3_u32 v16, v126, v19, 1                               // 000000007C8C: D1FF0010 0206277E
	v_cndmask_b32_e64 v4, v16, v18, s[46:47]                   // 000000007C94: D1000004 00BA2510
	v_cmp_u_f32_e64 s[46:47], v127, v127                       // 000000007C9C: D048002E 0002FF7F
	v_add3_u32 v16, v127, v19, 1                               // 000000007CA4: D1FF0010 0206277F
	v_cndmask_b32_e64 v5, v16, v18, s[46:47]                   // 000000007CAC: D1000005 00BA2510
	v_perm_b32 v103, v5, v4, s52                               // 000000007CB4: D1ED0067 00D20905
	v_cmp_u_f32_e64 s[46:47], v128, v128                       // 000000007CBC: D048002E 00030180
	v_add3_u32 v16, v128, v19, 1                               // 000000007CC4: D1FF0010 02062780
	v_cndmask_b32_e64 v4, v16, v18, s[46:47]                   // 000000007CCC: D1000004 00BA2510
	v_cmp_u_f32_e64 s[46:47], v129, v129                       // 000000007CD4: D048002E 00030381
	v_add3_u32 v16, v129, v19, 1                               // 000000007CDC: D1FF0010 02062781
	v_cndmask_b32_e64 v5, v16, v18, s[46:47]                   // 000000007CE4: D1000005 00BA2510
	v_perm_b32 v104, v5, v4, s52                               // 000000007CEC: D1ED0068 00D20905
	v_cmp_u_f32_e64 s[46:47], v130, v130                       // 000000007CF4: D048002E 00030582
	v_add3_u32 v16, v130, v19, 1                               // 000000007CFC: D1FF0010 02062782
	v_cndmask_b32_e64 v4, v16, v18, s[46:47]                   // 000000007D04: D1000004 00BA2510
	v_cmp_u_f32_e64 s[46:47], v131, v131                       // 000000007D0C: D048002E 00030783
	v_add3_u32 v16, v131, v19, 1                               // 000000007D14: D1FF0010 02062783
	v_cndmask_b32_e64 v5, v16, v18, s[46:47]                   // 000000007D1C: D1000005 00BA2510
	v_perm_b32 v105, v5, v4, s52                               // 000000007D24: D1ED0069 00D20905
	v_cmp_u_f32_e64 s[46:47], v132, v132                       // 000000007D2C: D048002E 00030984
	v_add3_u32 v16, v132, v19, 1                               // 000000007D34: D1FF0010 02062784
	v_cndmask_b32_e64 v4, v16, v18, s[46:47]                   // 000000007D3C: D1000004 00BA2510
	v_cmp_u_f32_e64 s[46:47], v133, v133                       // 000000007D44: D048002E 00030B85
	v_add3_u32 v16, v133, v19, 1                               // 000000007D4C: D1FF0010 02062785
	v_cndmask_b32_e64 v5, v16, v18, s[46:47]                   // 000000007D54: D1000005 00BA2510
	v_perm_b32 v106, v5, v4, s52                               // 000000007D5C: D1ED006A 00D20905
	v_cmp_u_f32_e64 s[46:47], v134, v134                       // 000000007D64: D048002E 00030D86
	v_add3_u32 v16, v134, v19, 1                               // 000000007D6C: D1FF0010 02062786
	v_cndmask_b32_e64 v4, v16, v18, s[46:47]                   // 000000007D74: D1000004 00BA2510
	v_cmp_u_f32_e64 s[46:47], v135, v135                       // 000000007D7C: D048002E 00030F87
	v_add3_u32 v16, v135, v19, 1                               // 000000007D84: D1FF0010 02062787
	v_cndmask_b32_e64 v5, v16, v18, s[46:47]                   // 000000007D8C: D1000005 00BA2510
	v_perm_b32 v107, v5, v4, s52                               // 000000007D94: D1ED006B 00D20905
	v_cmp_u_f32_e64 s[46:47], v136, v136                       // 000000007D9C: D048002E 00031188
	v_add3_u32 v16, v136, v19, 1                               // 000000007DA4: D1FF0010 02062788
	v_cndmask_b32_e64 v4, v16, v18, s[46:47]                   // 000000007DAC: D1000004 00BA2510
	v_cmp_u_f32_e64 s[46:47], v137, v137                       // 000000007DB4: D048002E 00031389
	v_add3_u32 v16, v137, v19, 1                               // 000000007DBC: D1FF0010 02062789
	v_cndmask_b32_e64 v5, v16, v18, s[46:47]                   // 000000007DC4: D1000005 00BA2510
	v_perm_b32 v108, v5, v4, s52                               // 000000007DCC: D1ED006C 00D20905
	v_cmp_u_f32_e64 s[46:47], v138, v138                       // 000000007DD4: D048002E 0003158A
	v_add3_u32 v16, v138, v19, 1                               // 000000007DDC: D1FF0010 0206278A
	v_cndmask_b32_e64 v4, v16, v18, s[46:47]                   // 000000007DE4: D1000004 00BA2510
	v_cmp_u_f32_e64 s[46:47], v139, v139                       // 000000007DEC: D048002E 0003178B
	v_add3_u32 v16, v139, v19, 1                               // 000000007DF4: D1FF0010 0206278B
	v_cndmask_b32_e64 v5, v16, v18, s[46:47]                   // 000000007DFC: D1000005 00BA2510
	v_perm_b32 v109, v5, v4, s52                               // 000000007E04: D1ED006D 00D20905
	v_cmp_u_f32_e64 s[46:47], v140, v140                       // 000000007E0C: D048002E 0003198C
	v_add3_u32 v16, v140, v19, 1                               // 000000007E14: D1FF0010 0206278C
	v_cndmask_b32_e64 v4, v16, v18, s[46:47]                   // 000000007E1C: D1000004 00BA2510
	v_cmp_u_f32_e64 s[46:47], v141, v141                       // 000000007E24: D048002E 00031B8D
	v_add3_u32 v16, v141, v19, 1                               // 000000007E2C: D1FF0010 0206278D
	v_cndmask_b32_e64 v5, v16, v18, s[46:47]                   // 000000007E34: D1000005 00BA2510
	v_perm_b32 v110, v5, v4, s52                               // 000000007E3C: D1ED006E 00D20905
	v_cmp_u_f32_e64 s[46:47], v142, v142                       // 000000007E44: D048002E 00031D8E
	v_add3_u32 v16, v142, v19, 1                               // 000000007E4C: D1FF0010 0206278E
	v_cndmask_b32_e64 v4, v16, v18, s[46:47]                   // 000000007E54: D1000004 00BA2510
	v_cmp_u_f32_e64 s[46:47], v143, v143                       // 000000007E5C: D048002E 00031F8F
	v_add3_u32 v16, v143, v19, 1                               // 000000007E64: D1FF0010 0206278F
	v_cndmask_b32_e64 v5, v16, v18, s[46:47]                   // 000000007E6C: D1000005 00BA2510
	v_perm_b32 v111, v5, v4, s52                               // 000000007E74: D1ED006F 00D20905
	ds_write_b64 v20, v[80:81]                                 // 000000007E7C: D89A0000 00005014
	ds_write_b64 v20, v[82:83] offset:4352                     // 000000007E84: D89A1100 00005214
	ds_write_b64 v20, v[84:85] offset:8704                     // 000000007E8C: D89A2200 00005414
	ds_write_b64 v20, v[86:87] offset:13056                    // 000000007E94: D89A3300 00005614
	ds_write_b64 v20, v[88:89] offset:17408                    // 000000007E9C: D89A4400 00005814
	ds_write_b64 v20, v[90:91] offset:21760                    // 000000007EA4: D89A5500 00005A14
	ds_write_b64 v20, v[92:93] offset:26112                    // 000000007EAC: D89A6600 00005C14
	ds_write_b64 v20, v[94:95] offset:30464                    // 000000007EB4: D89A7700 00005E14
	ds_write_b64 v20, v[96:97] offset:2176                     // 000000007EBC: D89A0880 00006014
	ds_write_b64 v20, v[98:99] offset:6528                     // 000000007EC4: D89A1980 00006214
	ds_write_b64 v20, v[100:101] offset:10880                  // 000000007ECC: D89A2A80 00006414
	ds_write_b64 v20, v[102:103] offset:15232                  // 000000007ED4: D89A3B80 00006614
	ds_write_b64 v20, v[104:105] offset:19584                  // 000000007EDC: D89A4C80 00006814
	ds_write_b64 v20, v[106:107] offset:23936                  // 000000007EE4: D89A5D80 00006A14
	ds_write_b64 v20, v[108:109] offset:28288                  // 000000007EEC: D89A6E80 00006C14
	ds_write_b64 v20, v[110:111] offset:32640                  // 000000007EF4: D89A7F80 00006E14
	v_lshrrev_b32_e32 v4, 5, v0                                // 000000007EFC: 20080085
	v_xor_b32_e32 v5, 1, v4                                    // 000000007F00: 2A0A0881
	s_mul_i32 s60, s65, 2                                      // 000000007F04: 923C8241
	s_cmp_eq_u32 s88, 0                                        // 000000007F08: BF068058
	s_cselect_b32 s61, 1, 4                                    // 000000007F0C: 853D8481
	s_mul_i32 s60, s61, s60                                    // 000000007F10: 923C3C3D
	v_readlane_b32 s82, v3, 0                                  // 000000007F14: D2890052 00010103
	s_lshr_b32 s61, s82, 24                                    // 000000007F1C: 8F3D9852
	s_and_b32 s82, s82, 0xffffff                               // 000000007F20: 8652FF52 00FFFFFF
	s_mul_i32 s82, s82, s71                                    // 000000007F28: 92524752
	s_mul_i32 s61, s60, s61                                    // 000000007F2C: 923D3D3C
	s_add_u32 s82, s82, s61                                    // 000000007F30: 80523D52
	v_mul_lo_u32 v6, v5, s82                                   // 000000007F34: D2850006 0000A505
	v_readlane_b32 s82, v3, 1                                  // 000000007F3C: D2890052 00010303
	s_lshr_b32 s61, s82, 24                                    // 000000007F44: 8F3D9852
	s_and_b32 s82, s82, 0xffffff                               // 000000007F48: 8652FF52 00FFFFFF
	s_mul_i32 s82, s82, s71                                    // 000000007F50: 92524752
	s_mul_i32 s61, s60, s61                                    // 000000007F54: 923D3D3C
	s_add_u32 s82, s82, s61                                    // 000000007F58: 80523D52
	v_mul_lo_u32 v7, v4, s82                                   // 000000007F5C: D2850007 0000A504
	v_add_u32_e32 v62, v6, v7                                  // 000000007F64: 687C0F06
	v_readlane_b32 s82, v3, 2                                  // 000000007F68: D2890052 00010503
	s_lshr_b32 s61, s82, 24                                    // 000000007F70: 8F3D9852
	s_and_b32 s82, s82, 0xffffff                               // 000000007F74: 8652FF52 00FFFFFF
	s_mul_i32 s82, s82, s71                                    // 000000007F7C: 92524752
	s_mul_i32 s61, s60, s61                                    // 000000007F80: 923D3D3C
	s_add_u32 s82, s82, s61                                    // 000000007F84: 80523D52
	v_mul_lo_u32 v6, v5, s82                                   // 000000007F88: D2850006 0000A505
	v_readlane_b32 s82, v3, 3                                  // 000000007F90: D2890052 00010703
	s_lshr_b32 s61, s82, 24                                    // 000000007F98: 8F3D9852
	s_and_b32 s82, s82, 0xffffff                               // 000000007F9C: 8652FF52 00FFFFFF
	s_mul_i32 s82, s82, s71                                    // 000000007FA4: 92524752
	s_mul_i32 s61, s60, s61                                    // 000000007FA8: 923D3D3C
	s_add_u32 s82, s82, s61                                    // 000000007FAC: 80523D52
	v_mul_lo_u32 v7, v4, s82                                   // 000000007FB0: D2850007 0000A504
	v_add_u32_e32 v63, v6, v7                                  // 000000007FB8: 687E0F06
	v_readlane_b32 s82, v3, 4                                  // 000000007FBC: D2890052 00010903
	s_lshr_b32 s61, s82, 24                                    // 000000007FC4: 8F3D9852
	s_and_b32 s82, s82, 0xffffff                               // 000000007FC8: 8652FF52 00FFFFFF
	s_mul_i32 s82, s82, s71                                    // 000000007FD0: 92524752
	s_mul_i32 s61, s60, s61                                    // 000000007FD4: 923D3D3C
	s_add_u32 s82, s82, s61                                    // 000000007FD8: 80523D52
	v_mul_lo_u32 v6, v5, s82                                   // 000000007FDC: D2850006 0000A505
	v_readlane_b32 s82, v3, 5                                  // 000000007FE4: D2890052 00010B03
	s_lshr_b32 s61, s82, 24                                    // 000000007FEC: 8F3D9852
	s_and_b32 s82, s82, 0xffffff                               // 000000007FF0: 8652FF52 00FFFFFF
	s_mul_i32 s82, s82, s71                                    // 000000007FF8: 92524752
	s_mul_i32 s61, s60, s61                                    // 000000007FFC: 923D3D3C
	s_add_u32 s82, s82, s61                                    // 000000008000: 80523D52
	v_mul_lo_u32 v7, v4, s82                                   // 000000008004: D2850007 0000A504
	v_add_u32_e32 v64, v6, v7                                  // 00000000800C: 68800F06
	v_readlane_b32 s82, v3, 6                                  // 000000008010: D2890052 00010D03
	s_lshr_b32 s61, s82, 24                                    // 000000008018: 8F3D9852
	s_and_b32 s82, s82, 0xffffff                               // 00000000801C: 8652FF52 00FFFFFF
	s_mul_i32 s82, s82, s71                                    // 000000008024: 92524752
	s_mul_i32 s61, s60, s61                                    // 000000008028: 923D3D3C
	s_add_u32 s82, s82, s61                                    // 00000000802C: 80523D52
	v_mul_lo_u32 v6, v5, s82                                   // 000000008030: D2850006 0000A505
	v_readlane_b32 s82, v3, 7                                  // 000000008038: D2890052 00010F03
	s_lshr_b32 s61, s82, 24                                    // 000000008040: 8F3D9852
	s_and_b32 s82, s82, 0xffffff                               // 000000008044: 8652FF52 00FFFFFF
	s_mul_i32 s82, s82, s71                                    // 00000000804C: 92524752
	s_mul_i32 s61, s60, s61                                    // 000000008050: 923D3D3C
	s_add_u32 s82, s82, s61                                    // 000000008054: 80523D52
	v_mul_lo_u32 v7, v4, s82                                   // 000000008058: D2850007 0000A504
	v_add_u32_e32 v65, v6, v7                                  // 000000008060: 68820F06
	v_readlane_b32 s82, v3, 8                                  // 000000008064: D2890052 00011103
	s_lshr_b32 s61, s82, 24                                    // 00000000806C: 8F3D9852
	s_and_b32 s82, s82, 0xffffff                               // 000000008070: 8652FF52 00FFFFFF
	s_mul_i32 s82, s82, s71                                    // 000000008078: 92524752
	s_mul_i32 s61, s60, s61                                    // 00000000807C: 923D3D3C
	s_add_u32 s82, s82, s61                                    // 000000008080: 80523D52
	v_mul_lo_u32 v6, v5, s82                                   // 000000008084: D2850006 0000A505
	v_readlane_b32 s82, v3, 9                                  // 00000000808C: D2890052 00011303
	s_lshr_b32 s61, s82, 24                                    // 000000008094: 8F3D9852
	s_and_b32 s82, s82, 0xffffff                               // 000000008098: 8652FF52 00FFFFFF
	s_mul_i32 s82, s82, s71                                    // 0000000080A0: 92524752
	s_mul_i32 s61, s60, s61                                    // 0000000080A4: 923D3D3C
	s_add_u32 s82, s82, s61                                    // 0000000080A8: 80523D52
	v_mul_lo_u32 v7, v4, s82                                   // 0000000080AC: D2850007 0000A504
	v_add_u32_e32 v66, v6, v7                                  // 0000000080B4: 68840F06
	v_readlane_b32 s82, v3, 10                                 // 0000000080B8: D2890052 00011503
	s_lshr_b32 s61, s82, 24                                    // 0000000080C0: 8F3D9852
	s_and_b32 s82, s82, 0xffffff                               // 0000000080C4: 8652FF52 00FFFFFF
	s_mul_i32 s82, s82, s71                                    // 0000000080CC: 92524752
	s_mul_i32 s61, s60, s61                                    // 0000000080D0: 923D3D3C
	s_add_u32 s82, s82, s61                                    // 0000000080D4: 80523D52
	v_mul_lo_u32 v6, v5, s82                                   // 0000000080D8: D2850006 0000A505
	v_readlane_b32 s82, v3, 11                                 // 0000000080E0: D2890052 00011703
	s_lshr_b32 s61, s82, 24                                    // 0000000080E8: 8F3D9852
	s_and_b32 s82, s82, 0xffffff                               // 0000000080EC: 8652FF52 00FFFFFF
	s_mul_i32 s82, s82, s71                                    // 0000000080F4: 92524752
	s_mul_i32 s61, s60, s61                                    // 0000000080F8: 923D3D3C
	s_add_u32 s82, s82, s61                                    // 0000000080FC: 80523D52
	v_mul_lo_u32 v7, v4, s82                                   // 000000008100: D2850007 0000A504
	v_add_u32_e32 v67, v6, v7                                  // 000000008108: 68860F06
	v_readlane_b32 s82, v3, 12                                 // 00000000810C: D2890052 00011903
	s_lshr_b32 s61, s82, 24                                    // 000000008114: 8F3D9852
	s_and_b32 s82, s82, 0xffffff                               // 000000008118: 8652FF52 00FFFFFF
	s_mul_i32 s82, s82, s71                                    // 000000008120: 92524752
	s_mul_i32 s61, s60, s61                                    // 000000008124: 923D3D3C
	s_add_u32 s82, s82, s61                                    // 000000008128: 80523D52
	v_mul_lo_u32 v6, v5, s82                                   // 00000000812C: D2850006 0000A505
	v_readlane_b32 s82, v3, 13                                 // 000000008134: D2890052 00011B03
	s_lshr_b32 s61, s82, 24                                    // 00000000813C: 8F3D9852
	s_and_b32 s82, s82, 0xffffff                               // 000000008140: 8652FF52 00FFFFFF
	s_mul_i32 s82, s82, s71                                    // 000000008148: 92524752
	s_mul_i32 s61, s60, s61                                    // 00000000814C: 923D3D3C
	s_add_u32 s82, s82, s61                                    // 000000008150: 80523D52
	v_mul_lo_u32 v7, v4, s82                                   // 000000008154: D2850007 0000A504
	v_add_u32_e32 v68, v6, v7                                  // 00000000815C: 68880F06
	v_readlane_b32 s82, v3, 14                                 // 000000008160: D2890052 00011D03
	s_lshr_b32 s61, s82, 24                                    // 000000008168: 8F3D9852
	s_and_b32 s82, s82, 0xffffff                               // 00000000816C: 8652FF52 00FFFFFF
	s_mul_i32 s82, s82, s71                                    // 000000008174: 92524752
	s_mul_i32 s61, s60, s61                                    // 000000008178: 923D3D3C
	s_add_u32 s82, s82, s61                                    // 00000000817C: 80523D52
	v_mul_lo_u32 v6, v5, s82                                   // 000000008180: D2850006 0000A505
	v_readlane_b32 s82, v3, 15                                 // 000000008188: D2890052 00011F03
	s_lshr_b32 s61, s82, 24                                    // 000000008190: 8F3D9852
	s_and_b32 s82, s82, 0xffffff                               // 000000008194: 8652FF52 00FFFFFF
	s_mul_i32 s82, s82, s71                                    // 00000000819C: 92524752
	s_mul_i32 s61, s60, s61                                    // 0000000081A0: 923D3D3C
	s_add_u32 s82, s82, s61                                    // 0000000081A4: 80523D52
	v_mul_lo_u32 v7, v4, s82                                   // 0000000081A8: D2850007 0000A504
	v_add_u32_e32 v69, v6, v7                                  // 0000000081B0: 688A0F06
	v_readlane_b32 s82, v3, 16                                 // 0000000081B4: D2890052 00012103
	s_lshr_b32 s61, s82, 24                                    // 0000000081BC: 8F3D9852
	s_and_b32 s82, s82, 0xffffff                               // 0000000081C0: 8652FF52 00FFFFFF
	s_mul_i32 s82, s82, s71                                    // 0000000081C8: 92524752
	s_mul_i32 s61, s60, s61                                    // 0000000081CC: 923D3D3C
	s_add_u32 s82, s82, s61                                    // 0000000081D0: 80523D52
	v_mul_lo_u32 v6, v5, s82                                   // 0000000081D4: D2850006 0000A505
	v_readlane_b32 s82, v3, 17                                 // 0000000081DC: D2890052 00012303
	s_lshr_b32 s61, s82, 24                                    // 0000000081E4: 8F3D9852
	s_and_b32 s82, s82, 0xffffff                               // 0000000081E8: 8652FF52 00FFFFFF
	s_mul_i32 s82, s82, s71                                    // 0000000081F0: 92524752
	s_mul_i32 s61, s60, s61                                    // 0000000081F4: 923D3D3C
	s_add_u32 s82, s82, s61                                    // 0000000081F8: 80523D52
	v_mul_lo_u32 v7, v4, s82                                   // 0000000081FC: D2850007 0000A504
	v_add_u32_e32 v70, v6, v7                                  // 000000008204: 688C0F06
	v_readlane_b32 s82, v3, 18                                 // 000000008208: D2890052 00012503
	s_lshr_b32 s61, s82, 24                                    // 000000008210: 8F3D9852
	s_and_b32 s82, s82, 0xffffff                               // 000000008214: 8652FF52 00FFFFFF
	s_mul_i32 s82, s82, s71                                    // 00000000821C: 92524752
	s_mul_i32 s61, s60, s61                                    // 000000008220: 923D3D3C
	s_add_u32 s82, s82, s61                                    // 000000008224: 80523D52
	v_mul_lo_u32 v6, v5, s82                                   // 000000008228: D2850006 0000A505
	v_readlane_b32 s82, v3, 19                                 // 000000008230: D2890052 00012703
	s_lshr_b32 s61, s82, 24                                    // 000000008238: 8F3D9852
	s_and_b32 s82, s82, 0xffffff                               // 00000000823C: 8652FF52 00FFFFFF
	s_mul_i32 s82, s82, s71                                    // 000000008244: 92524752
	s_mul_i32 s61, s60, s61                                    // 000000008248: 923D3D3C
	s_add_u32 s82, s82, s61                                    // 00000000824C: 80523D52
	v_mul_lo_u32 v7, v4, s82                                   // 000000008250: D2850007 0000A504
	v_add_u32_e32 v71, v6, v7                                  // 000000008258: 688E0F06
	v_readlane_b32 s82, v3, 20                                 // 00000000825C: D2890052 00012903
	s_lshr_b32 s61, s82, 24                                    // 000000008264: 8F3D9852
	s_and_b32 s82, s82, 0xffffff                               // 000000008268: 8652FF52 00FFFFFF
	s_mul_i32 s82, s82, s71                                    // 000000008270: 92524752
	s_mul_i32 s61, s60, s61                                    // 000000008274: 923D3D3C
	s_add_u32 s82, s82, s61                                    // 000000008278: 80523D52
	v_mul_lo_u32 v6, v5, s82                                   // 00000000827C: D2850006 0000A505
	v_readlane_b32 s82, v3, 21                                 // 000000008284: D2890052 00012B03
	s_lshr_b32 s61, s82, 24                                    // 00000000828C: 8F3D9852
	s_and_b32 s82, s82, 0xffffff                               // 000000008290: 8652FF52 00FFFFFF
	s_mul_i32 s82, s82, s71                                    // 000000008298: 92524752
	s_mul_i32 s61, s60, s61                                    // 00000000829C: 923D3D3C
	s_add_u32 s82, s82, s61                                    // 0000000082A0: 80523D52
	v_mul_lo_u32 v7, v4, s82                                   // 0000000082A4: D2850007 0000A504
	v_add_u32_e32 v72, v6, v7                                  // 0000000082AC: 68900F06
	v_readlane_b32 s82, v3, 22                                 // 0000000082B0: D2890052 00012D03
	s_lshr_b32 s61, s82, 24                                    // 0000000082B8: 8F3D9852
	s_and_b32 s82, s82, 0xffffff                               // 0000000082BC: 8652FF52 00FFFFFF
	s_mul_i32 s82, s82, s71                                    // 0000000082C4: 92524752
	s_mul_i32 s61, s60, s61                                    // 0000000082C8: 923D3D3C
	s_add_u32 s82, s82, s61                                    // 0000000082CC: 80523D52
	v_mul_lo_u32 v6, v5, s82                                   // 0000000082D0: D2850006 0000A505
	v_readlane_b32 s82, v3, 23                                 // 0000000082D8: D2890052 00012F03
	s_lshr_b32 s61, s82, 24                                    // 0000000082E0: 8F3D9852
	s_and_b32 s82, s82, 0xffffff                               // 0000000082E4: 8652FF52 00FFFFFF
	s_mul_i32 s82, s82, s71                                    // 0000000082EC: 92524752
	s_mul_i32 s61, s60, s61                                    // 0000000082F0: 923D3D3C
	s_add_u32 s82, s82, s61                                    // 0000000082F4: 80523D52
	v_mul_lo_u32 v7, v4, s82                                   // 0000000082F8: D2850007 0000A504
	v_add_u32_e32 v73, v6, v7                                  // 000000008300: 68920F06
	v_readlane_b32 s82, v3, 24                                 // 000000008304: D2890052 00013103
	s_lshr_b32 s61, s82, 24                                    // 00000000830C: 8F3D9852
	s_and_b32 s82, s82, 0xffffff                               // 000000008310: 8652FF52 00FFFFFF
	s_mul_i32 s82, s82, s71                                    // 000000008318: 92524752
	s_mul_i32 s61, s60, s61                                    // 00000000831C: 923D3D3C
	s_add_u32 s82, s82, s61                                    // 000000008320: 80523D52
	v_mul_lo_u32 v6, v5, s82                                   // 000000008324: D2850006 0000A505
	v_readlane_b32 s82, v3, 25                                 // 00000000832C: D2890052 00013303
	s_lshr_b32 s61, s82, 24                                    // 000000008334: 8F3D9852
	s_and_b32 s82, s82, 0xffffff                               // 000000008338: 8652FF52 00FFFFFF
	s_mul_i32 s82, s82, s71                                    // 000000008340: 92524752
	s_mul_i32 s61, s60, s61                                    // 000000008344: 923D3D3C
	s_add_u32 s82, s82, s61                                    // 000000008348: 80523D52
	v_mul_lo_u32 v7, v4, s82                                   // 00000000834C: D2850007 0000A504
	v_add_u32_e32 v74, v6, v7                                  // 000000008354: 68940F06
	v_readlane_b32 s82, v3, 26                                 // 000000008358: D2890052 00013503
	s_lshr_b32 s61, s82, 24                                    // 000000008360: 8F3D9852
	s_and_b32 s82, s82, 0xffffff                               // 000000008364: 8652FF52 00FFFFFF
	s_mul_i32 s82, s82, s71                                    // 00000000836C: 92524752
	s_mul_i32 s61, s60, s61                                    // 000000008370: 923D3D3C
	s_add_u32 s82, s82, s61                                    // 000000008374: 80523D52
	v_mul_lo_u32 v6, v5, s82                                   // 000000008378: D2850006 0000A505
	v_readlane_b32 s82, v3, 27                                 // 000000008380: D2890052 00013703
	s_lshr_b32 s61, s82, 24                                    // 000000008388: 8F3D9852
	s_and_b32 s82, s82, 0xffffff                               // 00000000838C: 8652FF52 00FFFFFF
	s_mul_i32 s82, s82, s71                                    // 000000008394: 92524752
	s_mul_i32 s61, s60, s61                                    // 000000008398: 923D3D3C
	s_add_u32 s82, s82, s61                                    // 00000000839C: 80523D52
	v_mul_lo_u32 v7, v4, s82                                   // 0000000083A0: D2850007 0000A504
	v_add_u32_e32 v75, v6, v7                                  // 0000000083A8: 68960F06
	v_readlane_b32 s82, v3, 28                                 // 0000000083AC: D2890052 00013903
	s_lshr_b32 s61, s82, 24                                    // 0000000083B4: 8F3D9852
	s_and_b32 s82, s82, 0xffffff                               // 0000000083B8: 8652FF52 00FFFFFF
	s_mul_i32 s82, s82, s71                                    // 0000000083C0: 92524752
	s_mul_i32 s61, s60, s61                                    // 0000000083C4: 923D3D3C
	s_add_u32 s82, s82, s61                                    // 0000000083C8: 80523D52
	v_mul_lo_u32 v6, v5, s82                                   // 0000000083CC: D2850006 0000A505
	v_readlane_b32 s82, v3, 29                                 // 0000000083D4: D2890052 00013B03
	s_lshr_b32 s61, s82, 24                                    // 0000000083DC: 8F3D9852
	s_and_b32 s82, s82, 0xffffff                               // 0000000083E0: 8652FF52 00FFFFFF
	s_mul_i32 s82, s82, s71                                    // 0000000083E8: 92524752
	s_mul_i32 s61, s60, s61                                    // 0000000083EC: 923D3D3C
	s_add_u32 s82, s82, s61                                    // 0000000083F0: 80523D52
	v_mul_lo_u32 v7, v4, s82                                   // 0000000083F4: D2850007 0000A504
	v_add_u32_e32 v76, v6, v7                                  // 0000000083FC: 68980F06
	v_readlane_b32 s82, v3, 30                                 // 000000008400: D2890052 00013D03
	s_lshr_b32 s61, s82, 24                                    // 000000008408: 8F3D9852
	s_and_b32 s82, s82, 0xffffff                               // 00000000840C: 8652FF52 00FFFFFF
	s_mul_i32 s82, s82, s71                                    // 000000008414: 92524752
	s_mul_i32 s61, s60, s61                                    // 000000008418: 923D3D3C
	s_add_u32 s82, s82, s61                                    // 00000000841C: 80523D52
	v_mul_lo_u32 v6, v5, s82                                   // 000000008420: D2850006 0000A505
	v_readlane_b32 s82, v3, 31                                 // 000000008428: D2890052 00013F03
	s_lshr_b32 s61, s82, 24                                    // 000000008430: 8F3D9852
	s_and_b32 s82, s82, 0xffffff                               // 000000008434: 8652FF52 00FFFFFF
	s_mul_i32 s82, s82, s71                                    // 00000000843C: 92524752
	s_mul_i32 s61, s60, s61                                    // 000000008440: 923D3D3C
	s_add_u32 s82, s82, s61                                    // 000000008444: 80523D52
	v_mul_lo_u32 v7, v4, s82                                   // 000000008448: D2850007 0000A504
	v_add_u32_e32 v77, v6, v7                                  // 000000008450: 689A0F06
	v_and_b32_e32 v4, 31, v0                                   // 000000008454: 2608009F
	v_lshrrev_b32_e32 v4, 1, v4                                // 000000008458: 20080881
	s_cmp_eq_u32 s88, 0                                        // 00000000845C: BF068058
	s_cselect_b32 s61, 2, 4                                    // 000000008460: 853D8482
	v_mul_lo_u32 v4, v4, s61                                   // 000000008464: D2850004 00007B04
	v_and_b32_e64 v5, v0, 1                                    // 00000000846C: D1130005 00010300
	v_add_u32_e32 v4, v4, v5                                   // 000000008474: 68080B04
	v_lshlrev_b32_e32 v4, 2, v4                                // 000000008478: 24080882
	v_add_u32_e32 v62, v62, v4                                 // 00000000847C: 687C093E
	v_add_u32_e32 v63, v63, v4                                 // 000000008480: 687E093F
	v_add_u32_e32 v64, v64, v4                                 // 000000008484: 68800940
	v_add_u32_e32 v65, v65, v4                                 // 000000008488: 68820941
	v_add_u32_e32 v66, v66, v4                                 // 00000000848C: 68840942
	v_add_u32_e32 v67, v67, v4                                 // 000000008490: 68860943
	v_add_u32_e32 v68, v68, v4                                 // 000000008494: 68880944
	v_add_u32_e32 v69, v69, v4                                 // 000000008498: 688A0945
	v_add_u32_e32 v70, v70, v4                                 // 00000000849C: 688C0946
	v_add_u32_e32 v71, v71, v4                                 // 0000000084A0: 688E0947
	v_add_u32_e32 v72, v72, v4                                 // 0000000084A4: 68900948
	v_add_u32_e32 v73, v73, v4                                 // 0000000084A8: 68920949
	v_add_u32_e32 v74, v74, v4                                 // 0000000084AC: 6894094A
	v_add_u32_e32 v75, v75, v4                                 // 0000000084B0: 6896094B
	v_add_u32_e32 v76, v76, v4                                 // 0000000084B4: 6898094C
	v_add_u32_e32 v77, v77, v4                                 // 0000000084B8: 689A094D
	s_waitcnt lgkmcnt(0)                                       // 0000000084BC: BF8CC07F
	s_barrier                                                  // 0000000084C0: BF8A0000
	ds_read_b32 v80, v21                                       // 0000000084C4: D86C0000 50000015
	ds_read_b32 v81, v21 offset:64                             // 0000000084CC: D86C0040 51000015
	ds_read_b32 v82, v21 offset:2176                           // 0000000084D4: D86C0880 52000015
	ds_read_b32 v83, v21 offset:2240                           // 0000000084DC: D86C08C0 53000015
	ds_read_b32 v84, v21 offset:4352                           // 0000000084E4: D86C1100 54000015
	ds_read_b32 v85, v21 offset:4416                           // 0000000084EC: D86C1140 55000015
	ds_read_b32 v86, v21 offset:6528                           // 0000000084F4: D86C1980 56000015
	ds_read_b32 v87, v21 offset:6592                           // 0000000084FC: D86C19C0 57000015
	ds_read_b32 v88, v21 offset:8704                           // 000000008504: D86C2200 58000015
	ds_read_b32 v89, v21 offset:8768                           // 00000000850C: D86C2240 59000015
	ds_read_b32 v90, v21 offset:10880                          // 000000008514: D86C2A80 5A000015
	ds_read_b32 v91, v21 offset:10944                          // 00000000851C: D86C2AC0 5B000015
	ds_read_b32 v92, v21 offset:13056                          // 000000008524: D86C3300 5C000015
	ds_read_b32 v93, v21 offset:13120                          // 00000000852C: D86C3340 5D000015
	ds_read_b32 v94, v21 offset:15232                          // 000000008534: D86C3B80 5E000015
	ds_read_b32 v95, v21 offset:15296                          // 00000000853C: D86C3BC0 5F000015
	ds_read_b32 v96, v21 offset:17408                          // 000000008544: D86C4400 60000015
	ds_read_b32 v97, v21 offset:17472                          // 00000000854C: D86C4440 61000015
	ds_read_b32 v98, v21 offset:19584                          // 000000008554: D86C4C80 62000015
	ds_read_b32 v99, v21 offset:19648                          // 00000000855C: D86C4CC0 63000015
	ds_read_b32 v100, v21 offset:21760                         // 000000008564: D86C5500 64000015
	ds_read_b32 v101, v21 offset:21824                         // 00000000856C: D86C5540 65000015
	ds_read_b32 v102, v21 offset:23936                         // 000000008574: D86C5D80 66000015
	ds_read_b32 v103, v21 offset:24000                         // 00000000857C: D86C5DC0 67000015
	ds_read_b32 v104, v21 offset:26112                         // 000000008584: D86C6600 68000015
	ds_read_b32 v105, v21 offset:26176                         // 00000000858C: D86C6640 69000015
	ds_read_b32 v106, v21 offset:28288                         // 000000008594: D86C6E80 6A000015
	ds_read_b32 v107, v21 offset:28352                         // 00000000859C: D86C6EC0 6B000015
	ds_read_b32 v108, v21 offset:30464                         // 0000000085A4: D86C7700 6C000015
	ds_read_b32 v109, v21 offset:30528                         // 0000000085AC: D86C7740 6D000015
	ds_read_b32 v110, v21 offset:32640                         // 0000000085B4: D86C7F80 6E000015
	ds_read_b32 v111, v21 offset:32704                         // 0000000085BC: D86C7FC0 6F000015
	s_waitcnt lgkmcnt(0)                                       // 0000000085C4: BF8CC07F
	s_mov_b32 s36, -1                                          // 0000000085C8: BEA400C1
	s_mov_b32 s37, -1                                          // 0000000085CC: BEA500C1
	v_mov_b32_e32 v7, 0                                        // 0000000085D0: 7E0E0280
	s_or_b32 s9, s9, 0x40000                                   // 0000000085D4: 8709FF09 00040000
	s_mov_b64 exec, s[36:37]                                   // 0000000085DC: BEFE0124
	v_mov_b32_e32 v6, v62                                      // 0000000085E0: 7E0C033E
	s_mov_b64 s[60:61], 0                                      // 0000000085E4: BEBC0180
	v_readlane_b32 s82, v3, 0                                  // 0000000085E8: D2890052 00010103
	s_and_b32 s82, s82, 0xffffff                               // 0000000085F0: 8652FF52 00FFFFFF
	s_cmp_lt_u32 s82, s66                                      // 0000000085F8: BF0A4252
	s_cselect_b32 s20, s36, s60                                // 0000000085FC: 85143C24
	v_readlane_b32 s82, v3, 1                                  // 000000008600: D2890052 00010303
	s_and_b32 s82, s82, 0xffffff                               // 000000008608: 8652FF52 00FFFFFF
	s_cmp_lt_u32 s82, s66                                      // 000000008610: BF0A4252
	s_cselect_b32 s21, s36, s60                                // 000000008614: 85153C24
	s_mov_b64 exec, s[20:21]                                   // 000000008618: BEFE0114
	buffer_store_dword v80, v6, s[8:11], 0 offen               // 00000000861C: E0701000 80025006
	buffer_store_dword v82, v6, s[8:11], 0 offen offset:128    // 000000008624: E0701080 80025206
	s_mov_b64 exec, s[36:37]                                   // 00000000862C: BEFE0124
	v_mov_b32_e32 v6, v63                                      // 000000008630: 7E0C033F
	s_mov_b64 s[60:61], 0                                      // 000000008634: BEBC0180
	v_readlane_b32 s82, v3, 2                                  // 000000008638: D2890052 00010503
	s_and_b32 s82, s82, 0xffffff                               // 000000008640: 8652FF52 00FFFFFF
	s_cmp_lt_u32 s82, s66                                      // 000000008648: BF0A4252
	s_cselect_b32 s20, s36, s60                                // 00000000864C: 85143C24
	v_readlane_b32 s82, v3, 3                                  // 000000008650: D2890052 00010703
	s_and_b32 s82, s82, 0xffffff                               // 000000008658: 8652FF52 00FFFFFF
	s_cmp_lt_u32 s82, s66                                      // 000000008660: BF0A4252
	s_cselect_b32 s21, s36, s60                                // 000000008664: 85153C24
	s_mov_b64 exec, s[20:21]                                   // 000000008668: BEFE0114
	buffer_store_dword v81, v6, s[8:11], 0 offen               // 00000000866C: E0701000 80025106
	buffer_store_dword v83, v6, s[8:11], 0 offen offset:128    // 000000008674: E0701080 80025306
	s_mov_b64 exec, s[36:37]                                   // 00000000867C: BEFE0124
	v_mov_b32_e32 v6, v64                                      // 000000008680: 7E0C0340
	s_mov_b64 s[60:61], 0                                      // 000000008684: BEBC0180
	v_readlane_b32 s82, v3, 4                                  // 000000008688: D2890052 00010903
	s_and_b32 s82, s82, 0xffffff                               // 000000008690: 8652FF52 00FFFFFF
	s_cmp_lt_u32 s82, s66                                      // 000000008698: BF0A4252
	s_cselect_b32 s20, s36, s60                                // 00000000869C: 85143C24
	v_readlane_b32 s82, v3, 5                                  // 0000000086A0: D2890052 00010B03
	s_and_b32 s82, s82, 0xffffff                               // 0000000086A8: 8652FF52 00FFFFFF
	s_cmp_lt_u32 s82, s66                                      // 0000000086B0: BF0A4252
	s_cselect_b32 s21, s36, s60                                // 0000000086B4: 85153C24
	s_mov_b64 exec, s[20:21]                                   // 0000000086B8: BEFE0114
	buffer_store_dword v84, v6, s[8:11], 0 offen               // 0000000086BC: E0701000 80025406
	buffer_store_dword v86, v6, s[8:11], 0 offen offset:128    // 0000000086C4: E0701080 80025606
	s_mov_b64 exec, s[36:37]                                   // 0000000086CC: BEFE0124
	v_mov_b32_e32 v6, v65                                      // 0000000086D0: 7E0C0341
	s_mov_b64 s[60:61], 0                                      // 0000000086D4: BEBC0180
	v_readlane_b32 s82, v3, 6                                  // 0000000086D8: D2890052 00010D03
	s_and_b32 s82, s82, 0xffffff                               // 0000000086E0: 8652FF52 00FFFFFF
	s_cmp_lt_u32 s82, s66                                      // 0000000086E8: BF0A4252
	s_cselect_b32 s20, s36, s60                                // 0000000086EC: 85143C24
	v_readlane_b32 s82, v3, 7                                  // 0000000086F0: D2890052 00010F03
	s_and_b32 s82, s82, 0xffffff                               // 0000000086F8: 8652FF52 00FFFFFF
	s_cmp_lt_u32 s82, s66                                      // 000000008700: BF0A4252
	s_cselect_b32 s21, s36, s60                                // 000000008704: 85153C24
	s_mov_b64 exec, s[20:21]                                   // 000000008708: BEFE0114
	buffer_store_dword v85, v6, s[8:11], 0 offen               // 00000000870C: E0701000 80025506
	buffer_store_dword v87, v6, s[8:11], 0 offen offset:128    // 000000008714: E0701080 80025706
	s_mov_b64 exec, s[36:37]                                   // 00000000871C: BEFE0124
	v_mov_b32_e32 v6, v66                                      // 000000008720: 7E0C0342
	s_mov_b64 s[60:61], 0                                      // 000000008724: BEBC0180
	v_readlane_b32 s82, v3, 8                                  // 000000008728: D2890052 00011103
	s_and_b32 s82, s82, 0xffffff                               // 000000008730: 8652FF52 00FFFFFF
	s_cmp_lt_u32 s82, s66                                      // 000000008738: BF0A4252
	s_cselect_b32 s20, s36, s60                                // 00000000873C: 85143C24
	v_readlane_b32 s82, v3, 9                                  // 000000008740: D2890052 00011303
	s_and_b32 s82, s82, 0xffffff                               // 000000008748: 8652FF52 00FFFFFF
	s_cmp_lt_u32 s82, s66                                      // 000000008750: BF0A4252
	s_cselect_b32 s21, s36, s60                                // 000000008754: 85153C24
	s_mov_b64 exec, s[20:21]                                   // 000000008758: BEFE0114
	buffer_store_dword v88, v6, s[8:11], 0 offen               // 00000000875C: E0701000 80025806
	buffer_store_dword v90, v6, s[8:11], 0 offen offset:128    // 000000008764: E0701080 80025A06
	s_mov_b64 exec, s[36:37]                                   // 00000000876C: BEFE0124
	v_mov_b32_e32 v6, v67                                      // 000000008770: 7E0C0343
	s_mov_b64 s[60:61], 0                                      // 000000008774: BEBC0180
	v_readlane_b32 s82, v3, 10                                 // 000000008778: D2890052 00011503
	s_and_b32 s82, s82, 0xffffff                               // 000000008780: 8652FF52 00FFFFFF
	s_cmp_lt_u32 s82, s66                                      // 000000008788: BF0A4252
	s_cselect_b32 s20, s36, s60                                // 00000000878C: 85143C24
	v_readlane_b32 s82, v3, 11                                 // 000000008790: D2890052 00011703
	s_and_b32 s82, s82, 0xffffff                               // 000000008798: 8652FF52 00FFFFFF
	s_cmp_lt_u32 s82, s66                                      // 0000000087A0: BF0A4252
	s_cselect_b32 s21, s36, s60                                // 0000000087A4: 85153C24
	s_mov_b64 exec, s[20:21]                                   // 0000000087A8: BEFE0114
	buffer_store_dword v89, v6, s[8:11], 0 offen               // 0000000087AC: E0701000 80025906
	buffer_store_dword v91, v6, s[8:11], 0 offen offset:128    // 0000000087B4: E0701080 80025B06
	s_mov_b64 exec, s[36:37]                                   // 0000000087BC: BEFE0124
	v_mov_b32_e32 v6, v68                                      // 0000000087C0: 7E0C0344
	s_mov_b64 s[60:61], 0                                      // 0000000087C4: BEBC0180
	v_readlane_b32 s82, v3, 12                                 // 0000000087C8: D2890052 00011903
	s_and_b32 s82, s82, 0xffffff                               // 0000000087D0: 8652FF52 00FFFFFF
	s_cmp_lt_u32 s82, s66                                      // 0000000087D8: BF0A4252
	s_cselect_b32 s20, s36, s60                                // 0000000087DC: 85143C24
	v_readlane_b32 s82, v3, 13                                 // 0000000087E0: D2890052 00011B03
	s_and_b32 s82, s82, 0xffffff                               // 0000000087E8: 8652FF52 00FFFFFF
	s_cmp_lt_u32 s82, s66                                      // 0000000087F0: BF0A4252
	s_cselect_b32 s21, s36, s60                                // 0000000087F4: 85153C24
	s_mov_b64 exec, s[20:21]                                   // 0000000087F8: BEFE0114
	buffer_store_dword v92, v6, s[8:11], 0 offen               // 0000000087FC: E0701000 80025C06
	buffer_store_dword v94, v6, s[8:11], 0 offen offset:128    // 000000008804: E0701080 80025E06
	s_mov_b64 exec, s[36:37]                                   // 00000000880C: BEFE0124
	v_mov_b32_e32 v6, v69                                      // 000000008810: 7E0C0345
	s_mov_b64 s[60:61], 0                                      // 000000008814: BEBC0180
	v_readlane_b32 s82, v3, 14                                 // 000000008818: D2890052 00011D03
	s_and_b32 s82, s82, 0xffffff                               // 000000008820: 8652FF52 00FFFFFF
	s_cmp_lt_u32 s82, s66                                      // 000000008828: BF0A4252
	s_cselect_b32 s20, s36, s60                                // 00000000882C: 85143C24
	v_readlane_b32 s82, v3, 15                                 // 000000008830: D2890052 00011F03
	s_and_b32 s82, s82, 0xffffff                               // 000000008838: 8652FF52 00FFFFFF
	s_cmp_lt_u32 s82, s66                                      // 000000008840: BF0A4252
	s_cselect_b32 s21, s36, s60                                // 000000008844: 85153C24
	s_mov_b64 exec, s[20:21]                                   // 000000008848: BEFE0114
	buffer_store_dword v93, v6, s[8:11], 0 offen               // 00000000884C: E0701000 80025D06
	buffer_store_dword v95, v6, s[8:11], 0 offen offset:128    // 000000008854: E0701080 80025F06
	s_mov_b64 exec, s[36:37]                                   // 00000000885C: BEFE0124
	v_mov_b32_e32 v6, v70                                      // 000000008860: 7E0C0346
	s_mov_b64 s[60:61], 0                                      // 000000008864: BEBC0180
	v_readlane_b32 s82, v3, 16                                 // 000000008868: D2890052 00012103
	s_and_b32 s82, s82, 0xffffff                               // 000000008870: 8652FF52 00FFFFFF
	s_cmp_lt_u32 s82, s66                                      // 000000008878: BF0A4252
	s_cselect_b32 s20, s36, s60                                // 00000000887C: 85143C24
	v_readlane_b32 s82, v3, 17                                 // 000000008880: D2890052 00012303
	s_and_b32 s82, s82, 0xffffff                               // 000000008888: 8652FF52 00FFFFFF
	s_cmp_lt_u32 s82, s66                                      // 000000008890: BF0A4252
	s_cselect_b32 s21, s36, s60                                // 000000008894: 85153C24
	s_mov_b64 exec, s[20:21]                                   // 000000008898: BEFE0114
	buffer_store_dword v96, v6, s[8:11], 0 offen               // 00000000889C: E0701000 80026006
	buffer_store_dword v98, v6, s[8:11], 0 offen offset:128    // 0000000088A4: E0701080 80026206
	s_mov_b64 exec, s[36:37]                                   // 0000000088AC: BEFE0124
	v_mov_b32_e32 v6, v71                                      // 0000000088B0: 7E0C0347
	s_mov_b64 s[60:61], 0                                      // 0000000088B4: BEBC0180
	v_readlane_b32 s82, v3, 18                                 // 0000000088B8: D2890052 00012503
	s_and_b32 s82, s82, 0xffffff                               // 0000000088C0: 8652FF52 00FFFFFF
	s_cmp_lt_u32 s82, s66                                      // 0000000088C8: BF0A4252
	s_cselect_b32 s20, s36, s60                                // 0000000088CC: 85143C24
	v_readlane_b32 s82, v3, 19                                 // 0000000088D0: D2890052 00012703
	s_and_b32 s82, s82, 0xffffff                               // 0000000088D8: 8652FF52 00FFFFFF
	s_cmp_lt_u32 s82, s66                                      // 0000000088E0: BF0A4252
	s_cselect_b32 s21, s36, s60                                // 0000000088E4: 85153C24
	s_mov_b64 exec, s[20:21]                                   // 0000000088E8: BEFE0114
	buffer_store_dword v97, v6, s[8:11], 0 offen               // 0000000088EC: E0701000 80026106
	buffer_store_dword v99, v6, s[8:11], 0 offen offset:128    // 0000000088F4: E0701080 80026306
	s_mov_b64 exec, s[36:37]                                   // 0000000088FC: BEFE0124
	v_mov_b32_e32 v6, v72                                      // 000000008900: 7E0C0348
	s_mov_b64 s[60:61], 0                                      // 000000008904: BEBC0180
	v_readlane_b32 s82, v3, 20                                 // 000000008908: D2890052 00012903
	s_and_b32 s82, s82, 0xffffff                               // 000000008910: 8652FF52 00FFFFFF
	s_cmp_lt_u32 s82, s66                                      // 000000008918: BF0A4252
	s_cselect_b32 s20, s36, s60                                // 00000000891C: 85143C24
	v_readlane_b32 s82, v3, 21                                 // 000000008920: D2890052 00012B03
	s_and_b32 s82, s82, 0xffffff                               // 000000008928: 8652FF52 00FFFFFF
	s_cmp_lt_u32 s82, s66                                      // 000000008930: BF0A4252
	s_cselect_b32 s21, s36, s60                                // 000000008934: 85153C24
	s_mov_b64 exec, s[20:21]                                   // 000000008938: BEFE0114
	buffer_store_dword v100, v6, s[8:11], 0 offen              // 00000000893C: E0701000 80026406
	buffer_store_dword v102, v6, s[8:11], 0 offen offset:128   // 000000008944: E0701080 80026606
	s_mov_b64 exec, s[36:37]                                   // 00000000894C: BEFE0124
	v_mov_b32_e32 v6, v73                                      // 000000008950: 7E0C0349
	s_mov_b64 s[60:61], 0                                      // 000000008954: BEBC0180
	v_readlane_b32 s82, v3, 22                                 // 000000008958: D2890052 00012D03
	s_and_b32 s82, s82, 0xffffff                               // 000000008960: 8652FF52 00FFFFFF
	s_cmp_lt_u32 s82, s66                                      // 000000008968: BF0A4252
	s_cselect_b32 s20, s36, s60                                // 00000000896C: 85143C24
	v_readlane_b32 s82, v3, 23                                 // 000000008970: D2890052 00012F03
	s_and_b32 s82, s82, 0xffffff                               // 000000008978: 8652FF52 00FFFFFF
	s_cmp_lt_u32 s82, s66                                      // 000000008980: BF0A4252
	s_cselect_b32 s21, s36, s60                                // 000000008984: 85153C24
	s_mov_b64 exec, s[20:21]                                   // 000000008988: BEFE0114
	buffer_store_dword v101, v6, s[8:11], 0 offen              // 00000000898C: E0701000 80026506
	buffer_store_dword v103, v6, s[8:11], 0 offen offset:128   // 000000008994: E0701080 80026706
	s_mov_b64 exec, s[36:37]                                   // 00000000899C: BEFE0124
	v_mov_b32_e32 v6, v74                                      // 0000000089A0: 7E0C034A
	s_mov_b64 s[60:61], 0                                      // 0000000089A4: BEBC0180
	v_readlane_b32 s82, v3, 24                                 // 0000000089A8: D2890052 00013103
	s_and_b32 s82, s82, 0xffffff                               // 0000000089B0: 8652FF52 00FFFFFF
	s_cmp_lt_u32 s82, s66                                      // 0000000089B8: BF0A4252
	s_cselect_b32 s20, s36, s60                                // 0000000089BC: 85143C24
	v_readlane_b32 s82, v3, 25                                 // 0000000089C0: D2890052 00013303
	s_and_b32 s82, s82, 0xffffff                               // 0000000089C8: 8652FF52 00FFFFFF
	s_cmp_lt_u32 s82, s66                                      // 0000000089D0: BF0A4252
	s_cselect_b32 s21, s36, s60                                // 0000000089D4: 85153C24
	s_mov_b64 exec, s[20:21]                                   // 0000000089D8: BEFE0114
	buffer_store_dword v104, v6, s[8:11], 0 offen              // 0000000089DC: E0701000 80026806
	buffer_store_dword v106, v6, s[8:11], 0 offen offset:128   // 0000000089E4: E0701080 80026A06
	s_mov_b64 exec, s[36:37]                                   // 0000000089EC: BEFE0124
	v_mov_b32_e32 v6, v75                                      // 0000000089F0: 7E0C034B
	s_mov_b64 s[60:61], 0                                      // 0000000089F4: BEBC0180
	v_readlane_b32 s82, v3, 26                                 // 0000000089F8: D2890052 00013503
	s_and_b32 s82, s82, 0xffffff                               // 000000008A00: 8652FF52 00FFFFFF
	s_cmp_lt_u32 s82, s66                                      // 000000008A08: BF0A4252
	s_cselect_b32 s20, s36, s60                                // 000000008A0C: 85143C24
	v_readlane_b32 s82, v3, 27                                 // 000000008A10: D2890052 00013703
	s_and_b32 s82, s82, 0xffffff                               // 000000008A18: 8652FF52 00FFFFFF
	s_cmp_lt_u32 s82, s66                                      // 000000008A20: BF0A4252
	s_cselect_b32 s21, s36, s60                                // 000000008A24: 85153C24
	s_mov_b64 exec, s[20:21]                                   // 000000008A28: BEFE0114
	buffer_store_dword v105, v6, s[8:11], 0 offen              // 000000008A2C: E0701000 80026906
	buffer_store_dword v107, v6, s[8:11], 0 offen offset:128   // 000000008A34: E0701080 80026B06
	s_mov_b64 exec, s[36:37]                                   // 000000008A3C: BEFE0124
	v_mov_b32_e32 v6, v76                                      // 000000008A40: 7E0C034C
	s_mov_b64 s[60:61], 0                                      // 000000008A44: BEBC0180
	v_readlane_b32 s82, v3, 28                                 // 000000008A48: D2890052 00013903
	s_and_b32 s82, s82, 0xffffff                               // 000000008A50: 8652FF52 00FFFFFF
	s_cmp_lt_u32 s82, s66                                      // 000000008A58: BF0A4252
	s_cselect_b32 s20, s36, s60                                // 000000008A5C: 85143C24
	v_readlane_b32 s82, v3, 29                                 // 000000008A60: D2890052 00013B03
	s_and_b32 s82, s82, 0xffffff                               // 000000008A68: 8652FF52 00FFFFFF
	s_cmp_lt_u32 s82, s66                                      // 000000008A70: BF0A4252
	s_cselect_b32 s21, s36, s60                                // 000000008A74: 85153C24
	s_mov_b64 exec, s[20:21]                                   // 000000008A78: BEFE0114
	buffer_store_dword v108, v6, s[8:11], 0 offen              // 000000008A7C: E0701000 80026C06
	buffer_store_dword v110, v6, s[8:11], 0 offen offset:128   // 000000008A84: E0701080 80026E06
	s_mov_b64 exec, s[36:37]                                   // 000000008A8C: BEFE0124
	v_mov_b32_e32 v6, v77                                      // 000000008A90: 7E0C034D
	s_mov_b64 s[60:61], 0                                      // 000000008A94: BEBC0180
	v_readlane_b32 s82, v3, 30                                 // 000000008A98: D2890052 00013D03
	s_and_b32 s82, s82, 0xffffff                               // 000000008AA0: 8652FF52 00FFFFFF
	s_cmp_lt_u32 s82, s66                                      // 000000008AA8: BF0A4252
	s_cselect_b32 s20, s36, s60                                // 000000008AAC: 85143C24
	v_readlane_b32 s82, v3, 31                                 // 000000008AB0: D2890052 00013F03
	s_and_b32 s82, s82, 0xffffff                               // 000000008AB8: 8652FF52 00FFFFFF
	s_cmp_lt_u32 s82, s66                                      // 000000008AC0: BF0A4252
	s_cselect_b32 s21, s36, s60                                // 000000008AC4: 85153C24
	s_mov_b64 exec, s[20:21]                                   // 000000008AC8: BEFE0114
	buffer_store_dword v109, v6, s[8:11], 0 offen              // 000000008ACC: E0701000 80026D06
	buffer_store_dword v111, v6, s[8:11], 0 offen offset:128   // 000000008AD4: E0701080 80026F06
	s_mov_b64 exec, s[36:37]                                   // 000000008ADC: BEFE0124
	s_branch label_3CEE                                        // 000000008AE0: BF8224B2

0000000000008ae4 <label_1839>:
	ds_write_b64 v20, v[80:81]                                 // 000000008AE4: D89A0000 00005014
	ds_write_b64 v20, v[84:85] offset:4352                     // 000000008AEC: D89A1100 00005414
	ds_write_b64 v20, v[88:89] offset:8704                     // 000000008AF4: D89A2200 00005814
	ds_write_b64 v20, v[92:93] offset:13056                    // 000000008AFC: D89A3300 00005C14
	ds_write_b64 v20, v[96:97] offset:17408                    // 000000008B04: D89A4400 00006014
	ds_write_b64 v20, v[100:101] offset:21760                  // 000000008B0C: D89A5500 00006414
	ds_write_b64 v20, v[104:105] offset:26112                  // 000000008B14: D89A6600 00006814
	ds_write_b64 v20, v[108:109] offset:30464                  // 000000008B1C: D89A7700 00006C14
	ds_write_b64 v20, v[112:113] offset:2176                   // 000000008B24: D89A0880 00007014
	ds_write_b64 v20, v[116:117] offset:6528                   // 000000008B2C: D89A1980 00007414
	ds_write_b64 v20, v[120:121] offset:10880                  // 000000008B34: D89A2A80 00007814
	ds_write_b64 v20, v[124:125] offset:15232                  // 000000008B3C: D89A3B80 00007C14
	ds_write_b64 v20, v[128:129] offset:19584                  // 000000008B44: D89A4C80 00008014
	ds_write_b64 v20, v[132:133] offset:23936                  // 000000008B4C: D89A5D80 00008414
	ds_write_b64 v20, v[136:137] offset:28288                  // 000000008B54: D89A6E80 00008814
	ds_write_b64 v20, v[140:141] offset:32640                  // 000000008B5C: D89A7F80 00008C14
	v_lshrrev_b32_e32 v4, 5, v0                                // 000000008B64: 20080085
	v_xor_b32_e32 v5, 1, v4                                    // 000000008B68: 2A0A0881
	s_mul_i32 s60, s65, 2                                      // 000000008B6C: 923C8241
	s_cmp_eq_u32 s88, 0                                        // 000000008B70: BF068058
	s_cselect_b32 s61, 1, 4                                    // 000000008B74: 853D8481
	s_mul_i32 s60, s61, s60                                    // 000000008B78: 923C3C3D
	v_readlane_b32 s82, v3, 0                                  // 000000008B7C: D2890052 00010103
	s_lshr_b32 s61, s82, 24                                    // 000000008B84: 8F3D9852
	s_and_b32 s82, s82, 0xffffff                               // 000000008B88: 8652FF52 00FFFFFF
	s_mul_i32 s82, s82, s71                                    // 000000008B90: 92524752
	s_mul_i32 s61, s60, s61                                    // 000000008B94: 923D3D3C
	s_add_u32 s82, s82, s61                                    // 000000008B98: 80523D52
	v_mul_lo_u32 v6, v5, s82                                   // 000000008B9C: D2850006 0000A505
	v_readlane_b32 s82, v3, 1                                  // 000000008BA4: D2890052 00010303
	s_lshr_b32 s61, s82, 24                                    // 000000008BAC: 8F3D9852
	s_and_b32 s82, s82, 0xffffff                               // 000000008BB0: 8652FF52 00FFFFFF
	s_mul_i32 s82, s82, s71                                    // 000000008BB8: 92524752
	s_mul_i32 s61, s60, s61                                    // 000000008BBC: 923D3D3C
	s_add_u32 s82, s82, s61                                    // 000000008BC0: 80523D52
	v_mul_lo_u32 v7, v4, s82                                   // 000000008BC4: D2850007 0000A504
	v_add_u32_e32 v62, v6, v7                                  // 000000008BCC: 687C0F06
	v_readlane_b32 s82, v3, 2                                  // 000000008BD0: D2890052 00010503
	s_lshr_b32 s61, s82, 24                                    // 000000008BD8: 8F3D9852
	s_and_b32 s82, s82, 0xffffff                               // 000000008BDC: 8652FF52 00FFFFFF
	s_mul_i32 s82, s82, s71                                    // 000000008BE4: 92524752
	s_mul_i32 s61, s60, s61                                    // 000000008BE8: 923D3D3C
	s_add_u32 s82, s82, s61                                    // 000000008BEC: 80523D52
	v_mul_lo_u32 v6, v5, s82                                   // 000000008BF0: D2850006 0000A505
	v_readlane_b32 s82, v3, 3                                  // 000000008BF8: D2890052 00010703
	s_lshr_b32 s61, s82, 24                                    // 000000008C00: 8F3D9852
	s_and_b32 s82, s82, 0xffffff                               // 000000008C04: 8652FF52 00FFFFFF
	s_mul_i32 s82, s82, s71                                    // 000000008C0C: 92524752
	s_mul_i32 s61, s60, s61                                    // 000000008C10: 923D3D3C
	s_add_u32 s82, s82, s61                                    // 000000008C14: 80523D52
	v_mul_lo_u32 v7, v4, s82                                   // 000000008C18: D2850007 0000A504
	v_add_u32_e32 v63, v6, v7                                  // 000000008C20: 687E0F06
	v_readlane_b32 s82, v3, 4                                  // 000000008C24: D2890052 00010903
	s_lshr_b32 s61, s82, 24                                    // 000000008C2C: 8F3D9852
	s_and_b32 s82, s82, 0xffffff                               // 000000008C30: 8652FF52 00FFFFFF
	s_mul_i32 s82, s82, s71                                    // 000000008C38: 92524752
	s_mul_i32 s61, s60, s61                                    // 000000008C3C: 923D3D3C
	s_add_u32 s82, s82, s61                                    // 000000008C40: 80523D52
	v_mul_lo_u32 v6, v5, s82                                   // 000000008C44: D2850006 0000A505
	v_readlane_b32 s82, v3, 5                                  // 000000008C4C: D2890052 00010B03
	s_lshr_b32 s61, s82, 24                                    // 000000008C54: 8F3D9852
	s_and_b32 s82, s82, 0xffffff                               // 000000008C58: 8652FF52 00FFFFFF
	s_mul_i32 s82, s82, s71                                    // 000000008C60: 92524752
	s_mul_i32 s61, s60, s61                                    // 000000008C64: 923D3D3C
	s_add_u32 s82, s82, s61                                    // 000000008C68: 80523D52
	v_mul_lo_u32 v7, v4, s82                                   // 000000008C6C: D2850007 0000A504
	v_add_u32_e32 v64, v6, v7                                  // 000000008C74: 68800F06
	v_readlane_b32 s82, v3, 6                                  // 000000008C78: D2890052 00010D03
	s_lshr_b32 s61, s82, 24                                    // 000000008C80: 8F3D9852
	s_and_b32 s82, s82, 0xffffff                               // 000000008C84: 8652FF52 00FFFFFF
	s_mul_i32 s82, s82, s71                                    // 000000008C8C: 92524752
	s_mul_i32 s61, s60, s61                                    // 000000008C90: 923D3D3C
	s_add_u32 s82, s82, s61                                    // 000000008C94: 80523D52
	v_mul_lo_u32 v6, v5, s82                                   // 000000008C98: D2850006 0000A505
	v_readlane_b32 s82, v3, 7                                  // 000000008CA0: D2890052 00010F03
	s_lshr_b32 s61, s82, 24                                    // 000000008CA8: 8F3D9852
	s_and_b32 s82, s82, 0xffffff                               // 000000008CAC: 8652FF52 00FFFFFF
	s_mul_i32 s82, s82, s71                                    // 000000008CB4: 92524752
	s_mul_i32 s61, s60, s61                                    // 000000008CB8: 923D3D3C
	s_add_u32 s82, s82, s61                                    // 000000008CBC: 80523D52
	v_mul_lo_u32 v7, v4, s82                                   // 000000008CC0: D2850007 0000A504
	v_add_u32_e32 v65, v6, v7                                  // 000000008CC8: 68820F06
	v_readlane_b32 s82, v3, 8                                  // 000000008CCC: D2890052 00011103
	s_lshr_b32 s61, s82, 24                                    // 000000008CD4: 8F3D9852
	s_and_b32 s82, s82, 0xffffff                               // 000000008CD8: 8652FF52 00FFFFFF
	s_mul_i32 s82, s82, s71                                    // 000000008CE0: 92524752
	s_mul_i32 s61, s60, s61                                    // 000000008CE4: 923D3D3C
	s_add_u32 s82, s82, s61                                    // 000000008CE8: 80523D52
	v_mul_lo_u32 v6, v5, s82                                   // 000000008CEC: D2850006 0000A505
	v_readlane_b32 s82, v3, 9                                  // 000000008CF4: D2890052 00011303
	s_lshr_b32 s61, s82, 24                                    // 000000008CFC: 8F3D9852
	s_and_b32 s82, s82, 0xffffff                               // 000000008D00: 8652FF52 00FFFFFF
	s_mul_i32 s82, s82, s71                                    // 000000008D08: 92524752
	s_mul_i32 s61, s60, s61                                    // 000000008D0C: 923D3D3C
	s_add_u32 s82, s82, s61                                    // 000000008D10: 80523D52
	v_mul_lo_u32 v7, v4, s82                                   // 000000008D14: D2850007 0000A504
	v_add_u32_e32 v66, v6, v7                                  // 000000008D1C: 68840F06
	v_readlane_b32 s82, v3, 10                                 // 000000008D20: D2890052 00011503
	s_lshr_b32 s61, s82, 24                                    // 000000008D28: 8F3D9852
	s_and_b32 s82, s82, 0xffffff                               // 000000008D2C: 8652FF52 00FFFFFF
	s_mul_i32 s82, s82, s71                                    // 000000008D34: 92524752
	s_mul_i32 s61, s60, s61                                    // 000000008D38: 923D3D3C
	s_add_u32 s82, s82, s61                                    // 000000008D3C: 80523D52
	v_mul_lo_u32 v6, v5, s82                                   // 000000008D40: D2850006 0000A505
	v_readlane_b32 s82, v3, 11                                 // 000000008D48: D2890052 00011703
	s_lshr_b32 s61, s82, 24                                    // 000000008D50: 8F3D9852
	s_and_b32 s82, s82, 0xffffff                               // 000000008D54: 8652FF52 00FFFFFF
	s_mul_i32 s82, s82, s71                                    // 000000008D5C: 92524752
	s_mul_i32 s61, s60, s61                                    // 000000008D60: 923D3D3C
	s_add_u32 s82, s82, s61                                    // 000000008D64: 80523D52
	v_mul_lo_u32 v7, v4, s82                                   // 000000008D68: D2850007 0000A504
	v_add_u32_e32 v67, v6, v7                                  // 000000008D70: 68860F06
	v_readlane_b32 s82, v3, 12                                 // 000000008D74: D2890052 00011903
	s_lshr_b32 s61, s82, 24                                    // 000000008D7C: 8F3D9852
	s_and_b32 s82, s82, 0xffffff                               // 000000008D80: 8652FF52 00FFFFFF
	s_mul_i32 s82, s82, s71                                    // 000000008D88: 92524752
	s_mul_i32 s61, s60, s61                                    // 000000008D8C: 923D3D3C
	s_add_u32 s82, s82, s61                                    // 000000008D90: 80523D52
	v_mul_lo_u32 v6, v5, s82                                   // 000000008D94: D2850006 0000A505
	v_readlane_b32 s82, v3, 13                                 // 000000008D9C: D2890052 00011B03
	s_lshr_b32 s61, s82, 24                                    // 000000008DA4: 8F3D9852
	s_and_b32 s82, s82, 0xffffff                               // 000000008DA8: 8652FF52 00FFFFFF
	s_mul_i32 s82, s82, s71                                    // 000000008DB0: 92524752
	s_mul_i32 s61, s60, s61                                    // 000000008DB4: 923D3D3C
	s_add_u32 s82, s82, s61                                    // 000000008DB8: 80523D52
	v_mul_lo_u32 v7, v4, s82                                   // 000000008DBC: D2850007 0000A504
	v_add_u32_e32 v68, v6, v7                                  // 000000008DC4: 68880F06
	v_readlane_b32 s82, v3, 14                                 // 000000008DC8: D2890052 00011D03
	s_lshr_b32 s61, s82, 24                                    // 000000008DD0: 8F3D9852
	s_and_b32 s82, s82, 0xffffff                               // 000000008DD4: 8652FF52 00FFFFFF
	s_mul_i32 s82, s82, s71                                    // 000000008DDC: 92524752
	s_mul_i32 s61, s60, s61                                    // 000000008DE0: 923D3D3C
	s_add_u32 s82, s82, s61                                    // 000000008DE4: 80523D52
	v_mul_lo_u32 v6, v5, s82                                   // 000000008DE8: D2850006 0000A505
	v_readlane_b32 s82, v3, 15                                 // 000000008DF0: D2890052 00011F03
	s_lshr_b32 s61, s82, 24                                    // 000000008DF8: 8F3D9852
	s_and_b32 s82, s82, 0xffffff                               // 000000008DFC: 8652FF52 00FFFFFF
	s_mul_i32 s82, s82, s71                                    // 000000008E04: 92524752
	s_mul_i32 s61, s60, s61                                    // 000000008E08: 923D3D3C
	s_add_u32 s82, s82, s61                                    // 000000008E0C: 80523D52
	v_mul_lo_u32 v7, v4, s82                                   // 000000008E10: D2850007 0000A504
	v_add_u32_e32 v69, v6, v7                                  // 000000008E18: 688A0F06
	v_readlane_b32 s82, v3, 16                                 // 000000008E1C: D2890052 00012103
	s_lshr_b32 s61, s82, 24                                    // 000000008E24: 8F3D9852
	s_and_b32 s82, s82, 0xffffff                               // 000000008E28: 8652FF52 00FFFFFF
	s_mul_i32 s82, s82, s71                                    // 000000008E30: 92524752
	s_mul_i32 s61, s60, s61                                    // 000000008E34: 923D3D3C
	s_add_u32 s82, s82, s61                                    // 000000008E38: 80523D52
	v_mul_lo_u32 v6, v5, s82                                   // 000000008E3C: D2850006 0000A505
	v_readlane_b32 s82, v3, 17                                 // 000000008E44: D2890052 00012303
	s_lshr_b32 s61, s82, 24                                    // 000000008E4C: 8F3D9852
	s_and_b32 s82, s82, 0xffffff                               // 000000008E50: 8652FF52 00FFFFFF
	s_mul_i32 s82, s82, s71                                    // 000000008E58: 92524752
	s_mul_i32 s61, s60, s61                                    // 000000008E5C: 923D3D3C
	s_add_u32 s82, s82, s61                                    // 000000008E60: 80523D52
	v_mul_lo_u32 v7, v4, s82                                   // 000000008E64: D2850007 0000A504
	v_add_u32_e32 v70, v6, v7                                  // 000000008E6C: 688C0F06
	v_readlane_b32 s82, v3, 18                                 // 000000008E70: D2890052 00012503
	s_lshr_b32 s61, s82, 24                                    // 000000008E78: 8F3D9852
	s_and_b32 s82, s82, 0xffffff                               // 000000008E7C: 8652FF52 00FFFFFF
	s_mul_i32 s82, s82, s71                                    // 000000008E84: 92524752
	s_mul_i32 s61, s60, s61                                    // 000000008E88: 923D3D3C
	s_add_u32 s82, s82, s61                                    // 000000008E8C: 80523D52
	v_mul_lo_u32 v6, v5, s82                                   // 000000008E90: D2850006 0000A505
	v_readlane_b32 s82, v3, 19                                 // 000000008E98: D2890052 00012703
	s_lshr_b32 s61, s82, 24                                    // 000000008EA0: 8F3D9852
	s_and_b32 s82, s82, 0xffffff                               // 000000008EA4: 8652FF52 00FFFFFF
	s_mul_i32 s82, s82, s71                                    // 000000008EAC: 92524752
	s_mul_i32 s61, s60, s61                                    // 000000008EB0: 923D3D3C
	s_add_u32 s82, s82, s61                                    // 000000008EB4: 80523D52
	v_mul_lo_u32 v7, v4, s82                                   // 000000008EB8: D2850007 0000A504
	v_add_u32_e32 v71, v6, v7                                  // 000000008EC0: 688E0F06
	v_readlane_b32 s82, v3, 20                                 // 000000008EC4: D2890052 00012903
	s_lshr_b32 s61, s82, 24                                    // 000000008ECC: 8F3D9852
	s_and_b32 s82, s82, 0xffffff                               // 000000008ED0: 8652FF52 00FFFFFF
	s_mul_i32 s82, s82, s71                                    // 000000008ED8: 92524752
	s_mul_i32 s61, s60, s61                                    // 000000008EDC: 923D3D3C
	s_add_u32 s82, s82, s61                                    // 000000008EE0: 80523D52
	v_mul_lo_u32 v6, v5, s82                                   // 000000008EE4: D2850006 0000A505
	v_readlane_b32 s82, v3, 21                                 // 000000008EEC: D2890052 00012B03
	s_lshr_b32 s61, s82, 24                                    // 000000008EF4: 8F3D9852
	s_and_b32 s82, s82, 0xffffff                               // 000000008EF8: 8652FF52 00FFFFFF
	s_mul_i32 s82, s82, s71                                    // 000000008F00: 92524752
	s_mul_i32 s61, s60, s61                                    // 000000008F04: 923D3D3C
	s_add_u32 s82, s82, s61                                    // 000000008F08: 80523D52
	v_mul_lo_u32 v7, v4, s82                                   // 000000008F0C: D2850007 0000A504
	v_add_u32_e32 v72, v6, v7                                  // 000000008F14: 68900F06
	v_readlane_b32 s82, v3, 22                                 // 000000008F18: D2890052 00012D03
	s_lshr_b32 s61, s82, 24                                    // 000000008F20: 8F3D9852
	s_and_b32 s82, s82, 0xffffff                               // 000000008F24: 8652FF52 00FFFFFF
	s_mul_i32 s82, s82, s71                                    // 000000008F2C: 92524752
	s_mul_i32 s61, s60, s61                                    // 000000008F30: 923D3D3C
	s_add_u32 s82, s82, s61                                    // 000000008F34: 80523D52
	v_mul_lo_u32 v6, v5, s82                                   // 000000008F38: D2850006 0000A505
	v_readlane_b32 s82, v3, 23                                 // 000000008F40: D2890052 00012F03
	s_lshr_b32 s61, s82, 24                                    // 000000008F48: 8F3D9852
	s_and_b32 s82, s82, 0xffffff                               // 000000008F4C: 8652FF52 00FFFFFF
	s_mul_i32 s82, s82, s71                                    // 000000008F54: 92524752
	s_mul_i32 s61, s60, s61                                    // 000000008F58: 923D3D3C
	s_add_u32 s82, s82, s61                                    // 000000008F5C: 80523D52
	v_mul_lo_u32 v7, v4, s82                                   // 000000008F60: D2850007 0000A504
	v_add_u32_e32 v73, v6, v7                                  // 000000008F68: 68920F06
	v_readlane_b32 s82, v3, 24                                 // 000000008F6C: D2890052 00013103
	s_lshr_b32 s61, s82, 24                                    // 000000008F74: 8F3D9852
	s_and_b32 s82, s82, 0xffffff                               // 000000008F78: 8652FF52 00FFFFFF
	s_mul_i32 s82, s82, s71                                    // 000000008F80: 92524752
	s_mul_i32 s61, s60, s61                                    // 000000008F84: 923D3D3C
	s_add_u32 s82, s82, s61                                    // 000000008F88: 80523D52
	v_mul_lo_u32 v6, v5, s82                                   // 000000008F8C: D2850006 0000A505
	v_readlane_b32 s82, v3, 25                                 // 000000008F94: D2890052 00013303
	s_lshr_b32 s61, s82, 24                                    // 000000008F9C: 8F3D9852
	s_and_b32 s82, s82, 0xffffff                               // 000000008FA0: 8652FF52 00FFFFFF
	s_mul_i32 s82, s82, s71                                    // 000000008FA8: 92524752
	s_mul_i32 s61, s60, s61                                    // 000000008FAC: 923D3D3C
	s_add_u32 s82, s82, s61                                    // 000000008FB0: 80523D52
	v_mul_lo_u32 v7, v4, s82                                   // 000000008FB4: D2850007 0000A504
	v_add_u32_e32 v74, v6, v7                                  // 000000008FBC: 68940F06
	v_readlane_b32 s82, v3, 26                                 // 000000008FC0: D2890052 00013503
	s_lshr_b32 s61, s82, 24                                    // 000000008FC8: 8F3D9852
	s_and_b32 s82, s82, 0xffffff                               // 000000008FCC: 8652FF52 00FFFFFF
	s_mul_i32 s82, s82, s71                                    // 000000008FD4: 92524752
	s_mul_i32 s61, s60, s61                                    // 000000008FD8: 923D3D3C
	s_add_u32 s82, s82, s61                                    // 000000008FDC: 80523D52
	v_mul_lo_u32 v6, v5, s82                                   // 000000008FE0: D2850006 0000A505
	v_readlane_b32 s82, v3, 27                                 // 000000008FE8: D2890052 00013703
	s_lshr_b32 s61, s82, 24                                    // 000000008FF0: 8F3D9852
	s_and_b32 s82, s82, 0xffffff                               // 000000008FF4: 8652FF52 00FFFFFF
	s_mul_i32 s82, s82, s71                                    // 000000008FFC: 92524752
	s_mul_i32 s61, s60, s61                                    // 000000009000: 923D3D3C
	s_add_u32 s82, s82, s61                                    // 000000009004: 80523D52
	v_mul_lo_u32 v7, v4, s82                                   // 000000009008: D2850007 0000A504
	v_add_u32_e32 v75, v6, v7                                  // 000000009010: 68960F06
	v_readlane_b32 s82, v3, 28                                 // 000000009014: D2890052 00013903
	s_lshr_b32 s61, s82, 24                                    // 00000000901C: 8F3D9852
	s_and_b32 s82, s82, 0xffffff                               // 000000009020: 8652FF52 00FFFFFF
	s_mul_i32 s82, s82, s71                                    // 000000009028: 92524752
	s_mul_i32 s61, s60, s61                                    // 00000000902C: 923D3D3C
	s_add_u32 s82, s82, s61                                    // 000000009030: 80523D52
	v_mul_lo_u32 v6, v5, s82                                   // 000000009034: D2850006 0000A505
	v_readlane_b32 s82, v3, 29                                 // 00000000903C: D2890052 00013B03
	s_lshr_b32 s61, s82, 24                                    // 000000009044: 8F3D9852
	s_and_b32 s82, s82, 0xffffff                               // 000000009048: 8652FF52 00FFFFFF
	s_mul_i32 s82, s82, s71                                    // 000000009050: 92524752
	s_mul_i32 s61, s60, s61                                    // 000000009054: 923D3D3C
	s_add_u32 s82, s82, s61                                    // 000000009058: 80523D52
	v_mul_lo_u32 v7, v4, s82                                   // 00000000905C: D2850007 0000A504
	v_add_u32_e32 v76, v6, v7                                  // 000000009064: 68980F06
	v_readlane_b32 s82, v3, 30                                 // 000000009068: D2890052 00013D03
	s_lshr_b32 s61, s82, 24                                    // 000000009070: 8F3D9852
	s_and_b32 s82, s82, 0xffffff                               // 000000009074: 8652FF52 00FFFFFF
	s_mul_i32 s82, s82, s71                                    // 00000000907C: 92524752
	s_mul_i32 s61, s60, s61                                    // 000000009080: 923D3D3C
	s_add_u32 s82, s82, s61                                    // 000000009084: 80523D52
	v_mul_lo_u32 v6, v5, s82                                   // 000000009088: D2850006 0000A505
	v_readlane_b32 s82, v3, 31                                 // 000000009090: D2890052 00013F03
	s_lshr_b32 s61, s82, 24                                    // 000000009098: 8F3D9852
	s_and_b32 s82, s82, 0xffffff                               // 00000000909C: 8652FF52 00FFFFFF
	s_mul_i32 s82, s82, s71                                    // 0000000090A4: 92524752
	s_mul_i32 s61, s60, s61                                    // 0000000090A8: 923D3D3C
	s_add_u32 s82, s82, s61                                    // 0000000090AC: 80523D52
	v_mul_lo_u32 v7, v4, s82                                   // 0000000090B0: D2850007 0000A504
	v_add_u32_e32 v77, v6, v7                                  // 0000000090B8: 689A0F06
	v_and_b32_e32 v4, 31, v0                                   // 0000000090BC: 2608009F
	v_lshrrev_b32_e32 v4, 1, v4                                // 0000000090C0: 20080881
	s_cmp_eq_u32 s88, 0                                        // 0000000090C4: BF068058
	s_cselect_b32 s61, 2, 4                                    // 0000000090C8: 853D8482
	v_mul_lo_u32 v4, v4, s61                                   // 0000000090CC: D2850004 00007B04
	v_and_b32_e64 v5, v0, 1                                    // 0000000090D4: D1130005 00010300
	v_add_u32_e32 v4, v4, v5                                   // 0000000090DC: 68080B04
	v_lshlrev_b32_e32 v4, 2, v4                                // 0000000090E0: 24080882
	v_add_u32_e32 v62, v62, v4                                 // 0000000090E4: 687C093E
	v_add_u32_e32 v63, v63, v4                                 // 0000000090E8: 687E093F
	v_add_u32_e32 v64, v64, v4                                 // 0000000090EC: 68800940
	v_add_u32_e32 v65, v65, v4                                 // 0000000090F0: 68820941
	v_add_u32_e32 v66, v66, v4                                 // 0000000090F4: 68840942
	v_add_u32_e32 v67, v67, v4                                 // 0000000090F8: 68860943
	v_add_u32_e32 v68, v68, v4                                 // 0000000090FC: 68880944
	v_add_u32_e32 v69, v69, v4                                 // 000000009100: 688A0945
	v_add_u32_e32 v70, v70, v4                                 // 000000009104: 688C0946
	v_add_u32_e32 v71, v71, v4                                 // 000000009108: 688E0947
	v_add_u32_e32 v72, v72, v4                                 // 00000000910C: 68900948
	v_add_u32_e32 v73, v73, v4                                 // 000000009110: 68920949
	v_add_u32_e32 v74, v74, v4                                 // 000000009114: 6894094A
	v_add_u32_e32 v75, v75, v4                                 // 000000009118: 6896094B
	v_add_u32_e32 v76, v76, v4                                 // 00000000911C: 6898094C
	v_add_u32_e32 v77, v77, v4                                 // 000000009120: 689A094D
	s_waitcnt lgkmcnt(0)                                       // 000000009124: BF8CC07F
	s_barrier                                                  // 000000009128: BF8A0000
	ds_read_b32 v80, v21                                       // 00000000912C: D86C0000 50000015
	ds_read_b32 v81, v21 offset:64                             // 000000009134: D86C0040 51000015
	ds_read_b32 v84, v21 offset:2176                           // 00000000913C: D86C0880 54000015
	ds_read_b32 v85, v21 offset:2240                           // 000000009144: D86C08C0 55000015
	ds_read_b32 v88, v21 offset:4352                           // 00000000914C: D86C1100 58000015
	ds_read_b32 v89, v21 offset:4416                           // 000000009154: D86C1140 59000015
	ds_read_b32 v92, v21 offset:6528                           // 00000000915C: D86C1980 5C000015
	ds_read_b32 v93, v21 offset:6592                           // 000000009164: D86C19C0 5D000015
	ds_read_b32 v96, v21 offset:8704                           // 00000000916C: D86C2200 60000015
	ds_read_b32 v97, v21 offset:8768                           // 000000009174: D86C2240 61000015
	ds_read_b32 v100, v21 offset:10880                         // 00000000917C: D86C2A80 64000015
	ds_read_b32 v101, v21 offset:10944                         // 000000009184: D86C2AC0 65000015
	ds_read_b32 v104, v21 offset:13056                         // 00000000918C: D86C3300 68000015
	ds_read_b32 v105, v21 offset:13120                         // 000000009194: D86C3340 69000015
	ds_read_b32 v108, v21 offset:15232                         // 00000000919C: D86C3B80 6C000015
	ds_read_b32 v109, v21 offset:15296                         // 0000000091A4: D86C3BC0 6D000015
	ds_read_b32 v112, v21 offset:17408                         // 0000000091AC: D86C4400 70000015
	ds_read_b32 v113, v21 offset:17472                         // 0000000091B4: D86C4440 71000015
	ds_read_b32 v116, v21 offset:19584                         // 0000000091BC: D86C4C80 74000015
	ds_read_b32 v117, v21 offset:19648                         // 0000000091C4: D86C4CC0 75000015
	ds_read_b32 v120, v21 offset:21760                         // 0000000091CC: D86C5500 78000015
	ds_read_b32 v121, v21 offset:21824                         // 0000000091D4: D86C5540 79000015
	ds_read_b32 v124, v21 offset:23936                         // 0000000091DC: D86C5D80 7C000015
	ds_read_b32 v125, v21 offset:24000                         // 0000000091E4: D86C5DC0 7D000015
	ds_read_b32 v128, v21 offset:26112                         // 0000000091EC: D86C6600 80000015
	ds_read_b32 v129, v21 offset:26176                         // 0000000091F4: D86C6640 81000015
	ds_read_b32 v132, v21 offset:28288                         // 0000000091FC: D86C6E80 84000015
	ds_read_b32 v133, v21 offset:28352                         // 000000009204: D86C6EC0 85000015
	ds_read_b32 v136, v21 offset:30464                         // 00000000920C: D86C7700 88000015
	ds_read_b32 v137, v21 offset:30528                         // 000000009214: D86C7740 89000015
	ds_read_b32 v140, v21 offset:32640                         // 00000000921C: D86C7F80 8C000015
	ds_read_b32 v141, v21 offset:32704                         // 000000009224: D86C7FC0 8D000015
	s_waitcnt lgkmcnt(0)                                       // 00000000922C: BF8CC07F
	s_mov_b32 s36, -1                                          // 000000009230: BEA400C1
	s_mov_b32 s37, -1                                          // 000000009234: BEA500C1
	v_mov_b32_e32 v7, 0                                        // 000000009238: 7E0E0280
	s_mov_b64 exec, s[36:37]                                   // 00000000923C: BEFE0124
	v_mov_b32_e32 v6, v62                                      // 000000009240: 7E0C033E
	s_mov_b64 s[60:61], 0                                      // 000000009244: BEBC0180
	v_readlane_b32 s82, v3, 0                                  // 000000009248: D2890052 00010103
	s_and_b32 s82, s82, 0xffffff                               // 000000009250: 8652FF52 00FFFFFF
	s_cmp_lt_u32 s82, s66                                      // 000000009258: BF0A4252
	s_cselect_b32 s20, s36, s60                                // 00000000925C: 85143C24
	v_readlane_b32 s82, v3, 1                                  // 000000009260: D2890052 00010303
	s_and_b32 s82, s82, 0xffffff                               // 000000009268: 8652FF52 00FFFFFF
	s_cmp_lt_u32 s82, s66                                      // 000000009270: BF0A4252
	s_cselect_b32 s21, s36, s60                                // 000000009274: 85153C24
	s_mov_b64 exec, s[20:21]                                   // 000000009278: BEFE0114
	global_atomic_add_f32 v6, v80, s[8:9]                      // 00000000927C: DD348000 00085006
	global_atomic_add_f32 v6, v84, s[8:9] offset:256           // 000000009284: DD348100 00085406
	s_mov_b64 exec, s[36:37]                                   // 00000000928C: BEFE0124
	v_mov_b32_e32 v6, v63                                      // 000000009290: 7E0C033F
	s_mov_b64 s[60:61], 0                                      // 000000009294: BEBC0180
	v_readlane_b32 s82, v3, 2                                  // 000000009298: D2890052 00010503
	s_and_b32 s82, s82, 0xffffff                               // 0000000092A0: 8652FF52 00FFFFFF
	s_cmp_lt_u32 s82, s66                                      // 0000000092A8: BF0A4252
	s_cselect_b32 s20, s36, s60                                // 0000000092AC: 85143C24
	v_readlane_b32 s82, v3, 3                                  // 0000000092B0: D2890052 00010703
	s_and_b32 s82, s82, 0xffffff                               // 0000000092B8: 8652FF52 00FFFFFF
	s_cmp_lt_u32 s82, s66                                      // 0000000092C0: BF0A4252
	s_cselect_b32 s21, s36, s60                                // 0000000092C4: 85153C24
	s_mov_b64 exec, s[20:21]                                   // 0000000092C8: BEFE0114
	global_atomic_add_f32 v6, v81, s[8:9]                      // 0000000092CC: DD348000 00085106
	global_atomic_add_f32 v6, v85, s[8:9] offset:256           // 0000000092D4: DD348100 00085506
	s_mov_b64 exec, s[36:37]                                   // 0000000092DC: BEFE0124
	v_mov_b32_e32 v6, v64                                      // 0000000092E0: 7E0C0340
	s_mov_b64 s[60:61], 0                                      // 0000000092E4: BEBC0180
	v_readlane_b32 s82, v3, 4                                  // 0000000092E8: D2890052 00010903
	s_and_b32 s82, s82, 0xffffff                               // 0000000092F0: 8652FF52 00FFFFFF
	s_cmp_lt_u32 s82, s66                                      // 0000000092F8: BF0A4252
	s_cselect_b32 s20, s36, s60                                // 0000000092FC: 85143C24
	v_readlane_b32 s82, v3, 5                                  // 000000009300: D2890052 00010B03
	s_and_b32 s82, s82, 0xffffff                               // 000000009308: 8652FF52 00FFFFFF
	s_cmp_lt_u32 s82, s66                                      // 000000009310: BF0A4252
	s_cselect_b32 s21, s36, s60                                // 000000009314: 85153C24
	s_mov_b64 exec, s[20:21]                                   // 000000009318: BEFE0114
	global_atomic_add_f32 v6, v88, s[8:9]                      // 00000000931C: DD348000 00085806
	global_atomic_add_f32 v6, v92, s[8:9] offset:256           // 000000009324: DD348100 00085C06
	s_mov_b64 exec, s[36:37]                                   // 00000000932C: BEFE0124
	v_mov_b32_e32 v6, v65                                      // 000000009330: 7E0C0341
	s_mov_b64 s[60:61], 0                                      // 000000009334: BEBC0180
	v_readlane_b32 s82, v3, 6                                  // 000000009338: D2890052 00010D03
	s_and_b32 s82, s82, 0xffffff                               // 000000009340: 8652FF52 00FFFFFF
	s_cmp_lt_u32 s82, s66                                      // 000000009348: BF0A4252
	s_cselect_b32 s20, s36, s60                                // 00000000934C: 85143C24
	v_readlane_b32 s82, v3, 7                                  // 000000009350: D2890052 00010F03
	s_and_b32 s82, s82, 0xffffff                               // 000000009358: 8652FF52 00FFFFFF
	s_cmp_lt_u32 s82, s66                                      // 000000009360: BF0A4252
	s_cselect_b32 s21, s36, s60                                // 000000009364: 85153C24
	s_mov_b64 exec, s[20:21]                                   // 000000009368: BEFE0114
	global_atomic_add_f32 v6, v89, s[8:9]                      // 00000000936C: DD348000 00085906
	global_atomic_add_f32 v6, v93, s[8:9] offset:256           // 000000009374: DD348100 00085D06
	s_mov_b64 exec, s[36:37]                                   // 00000000937C: BEFE0124
	v_mov_b32_e32 v6, v66                                      // 000000009380: 7E0C0342
	s_mov_b64 s[60:61], 0                                      // 000000009384: BEBC0180
	v_readlane_b32 s82, v3, 8                                  // 000000009388: D2890052 00011103
	s_and_b32 s82, s82, 0xffffff                               // 000000009390: 8652FF52 00FFFFFF
	s_cmp_lt_u32 s82, s66                                      // 000000009398: BF0A4252
	s_cselect_b32 s20, s36, s60                                // 00000000939C: 85143C24
	v_readlane_b32 s82, v3, 9                                  // 0000000093A0: D2890052 00011303
	s_and_b32 s82, s82, 0xffffff                               // 0000000093A8: 8652FF52 00FFFFFF
	s_cmp_lt_u32 s82, s66                                      // 0000000093B0: BF0A4252
	s_cselect_b32 s21, s36, s60                                // 0000000093B4: 85153C24
	s_mov_b64 exec, s[20:21]                                   // 0000000093B8: BEFE0114
	global_atomic_add_f32 v6, v96, s[8:9]                      // 0000000093BC: DD348000 00086006
	global_atomic_add_f32 v6, v100, s[8:9] offset:256          // 0000000093C4: DD348100 00086406
	s_mov_b64 exec, s[36:37]                                   // 0000000093CC: BEFE0124
	v_mov_b32_e32 v6, v67                                      // 0000000093D0: 7E0C0343
	s_mov_b64 s[60:61], 0                                      // 0000000093D4: BEBC0180
	v_readlane_b32 s82, v3, 10                                 // 0000000093D8: D2890052 00011503
	s_and_b32 s82, s82, 0xffffff                               // 0000000093E0: 8652FF52 00FFFFFF
	s_cmp_lt_u32 s82, s66                                      // 0000000093E8: BF0A4252
	s_cselect_b32 s20, s36, s60                                // 0000000093EC: 85143C24
	v_readlane_b32 s82, v3, 11                                 // 0000000093F0: D2890052 00011703
	s_and_b32 s82, s82, 0xffffff                               // 0000000093F8: 8652FF52 00FFFFFF
	s_cmp_lt_u32 s82, s66                                      // 000000009400: BF0A4252
	s_cselect_b32 s21, s36, s60                                // 000000009404: 85153C24
	s_mov_b64 exec, s[20:21]                                   // 000000009408: BEFE0114
	global_atomic_add_f32 v6, v97, s[8:9]                      // 00000000940C: DD348000 00086106
	global_atomic_add_f32 v6, v101, s[8:9] offset:256          // 000000009414: DD348100 00086506
	s_mov_b64 exec, s[36:37]                                   // 00000000941C: BEFE0124
	v_mov_b32_e32 v6, v68                                      // 000000009420: 7E0C0344
	s_mov_b64 s[60:61], 0                                      // 000000009424: BEBC0180
	v_readlane_b32 s82, v3, 12                                 // 000000009428: D2890052 00011903
	s_and_b32 s82, s82, 0xffffff                               // 000000009430: 8652FF52 00FFFFFF
	s_cmp_lt_u32 s82, s66                                      // 000000009438: BF0A4252
	s_cselect_b32 s20, s36, s60                                // 00000000943C: 85143C24
	v_readlane_b32 s82, v3, 13                                 // 000000009440: D2890052 00011B03
	s_and_b32 s82, s82, 0xffffff                               // 000000009448: 8652FF52 00FFFFFF
	s_cmp_lt_u32 s82, s66                                      // 000000009450: BF0A4252
	s_cselect_b32 s21, s36, s60                                // 000000009454: 85153C24
	s_mov_b64 exec, s[20:21]                                   // 000000009458: BEFE0114
	global_atomic_add_f32 v6, v104, s[8:9]                     // 00000000945C: DD348000 00086806
	global_atomic_add_f32 v6, v108, s[8:9] offset:256          // 000000009464: DD348100 00086C06
	s_mov_b64 exec, s[36:37]                                   // 00000000946C: BEFE0124
	v_mov_b32_e32 v6, v69                                      // 000000009470: 7E0C0345
	s_mov_b64 s[60:61], 0                                      // 000000009474: BEBC0180
	v_readlane_b32 s82, v3, 14                                 // 000000009478: D2890052 00011D03
	s_and_b32 s82, s82, 0xffffff                               // 000000009480: 8652FF52 00FFFFFF
	s_cmp_lt_u32 s82, s66                                      // 000000009488: BF0A4252
	s_cselect_b32 s20, s36, s60                                // 00000000948C: 85143C24
	v_readlane_b32 s82, v3, 15                                 // 000000009490: D2890052 00011F03
	s_and_b32 s82, s82, 0xffffff                               // 000000009498: 8652FF52 00FFFFFF
	s_cmp_lt_u32 s82, s66                                      // 0000000094A0: BF0A4252
	s_cselect_b32 s21, s36, s60                                // 0000000094A4: 85153C24
	s_mov_b64 exec, s[20:21]                                   // 0000000094A8: BEFE0114
	global_atomic_add_f32 v6, v105, s[8:9]                     // 0000000094AC: DD348000 00086906
	global_atomic_add_f32 v6, v109, s[8:9] offset:256          // 0000000094B4: DD348100 00086D06
	s_mov_b64 exec, s[36:37]                                   // 0000000094BC: BEFE0124
	v_mov_b32_e32 v6, v70                                      // 0000000094C0: 7E0C0346
	s_mov_b64 s[60:61], 0                                      // 0000000094C4: BEBC0180
	v_readlane_b32 s82, v3, 16                                 // 0000000094C8: D2890052 00012103
	s_and_b32 s82, s82, 0xffffff                               // 0000000094D0: 8652FF52 00FFFFFF
	s_cmp_lt_u32 s82, s66                                      // 0000000094D8: BF0A4252
	s_cselect_b32 s20, s36, s60                                // 0000000094DC: 85143C24
	v_readlane_b32 s82, v3, 17                                 // 0000000094E0: D2890052 00012303
	s_and_b32 s82, s82, 0xffffff                               // 0000000094E8: 8652FF52 00FFFFFF
	s_cmp_lt_u32 s82, s66                                      // 0000000094F0: BF0A4252
	s_cselect_b32 s21, s36, s60                                // 0000000094F4: 85153C24
	s_mov_b64 exec, s[20:21]                                   // 0000000094F8: BEFE0114
	global_atomic_add_f32 v6, v112, s[8:9]                     // 0000000094FC: DD348000 00087006
	global_atomic_add_f32 v6, v116, s[8:9] offset:256          // 000000009504: DD348100 00087406
	s_mov_b64 exec, s[36:37]                                   // 00000000950C: BEFE0124
	v_mov_b32_e32 v6, v71                                      // 000000009510: 7E0C0347
	s_mov_b64 s[60:61], 0                                      // 000000009514: BEBC0180
	v_readlane_b32 s82, v3, 18                                 // 000000009518: D2890052 00012503
	s_and_b32 s82, s82, 0xffffff                               // 000000009520: 8652FF52 00FFFFFF
	s_cmp_lt_u32 s82, s66                                      // 000000009528: BF0A4252
	s_cselect_b32 s20, s36, s60                                // 00000000952C: 85143C24
	v_readlane_b32 s82, v3, 19                                 // 000000009530: D2890052 00012703
	s_and_b32 s82, s82, 0xffffff                               // 000000009538: 8652FF52 00FFFFFF
	s_cmp_lt_u32 s82, s66                                      // 000000009540: BF0A4252
	s_cselect_b32 s21, s36, s60                                // 000000009544: 85153C24
	s_mov_b64 exec, s[20:21]                                   // 000000009548: BEFE0114
	global_atomic_add_f32 v6, v113, s[8:9]                     // 00000000954C: DD348000 00087106
	global_atomic_add_f32 v6, v117, s[8:9] offset:256          // 000000009554: DD348100 00087506
	s_mov_b64 exec, s[36:37]                                   // 00000000955C: BEFE0124
	v_mov_b32_e32 v6, v72                                      // 000000009560: 7E0C0348
	s_mov_b64 s[60:61], 0                                      // 000000009564: BEBC0180
	v_readlane_b32 s82, v3, 20                                 // 000000009568: D2890052 00012903
	s_and_b32 s82, s82, 0xffffff                               // 000000009570: 8652FF52 00FFFFFF
	s_cmp_lt_u32 s82, s66                                      // 000000009578: BF0A4252
	s_cselect_b32 s20, s36, s60                                // 00000000957C: 85143C24
	v_readlane_b32 s82, v3, 21                                 // 000000009580: D2890052 00012B03
	s_and_b32 s82, s82, 0xffffff                               // 000000009588: 8652FF52 00FFFFFF
	s_cmp_lt_u32 s82, s66                                      // 000000009590: BF0A4252
	s_cselect_b32 s21, s36, s60                                // 000000009594: 85153C24
	s_mov_b64 exec, s[20:21]                                   // 000000009598: BEFE0114
	global_atomic_add_f32 v6, v120, s[8:9]                     // 00000000959C: DD348000 00087806
	global_atomic_add_f32 v6, v124, s[8:9] offset:256          // 0000000095A4: DD348100 00087C06
	s_mov_b64 exec, s[36:37]                                   // 0000000095AC: BEFE0124
	v_mov_b32_e32 v6, v73                                      // 0000000095B0: 7E0C0349
	s_mov_b64 s[60:61], 0                                      // 0000000095B4: BEBC0180
	v_readlane_b32 s82, v3, 22                                 // 0000000095B8: D2890052 00012D03
	s_and_b32 s82, s82, 0xffffff                               // 0000000095C0: 8652FF52 00FFFFFF
	s_cmp_lt_u32 s82, s66                                      // 0000000095C8: BF0A4252
	s_cselect_b32 s20, s36, s60                                // 0000000095CC: 85143C24
	v_readlane_b32 s82, v3, 23                                 // 0000000095D0: D2890052 00012F03
	s_and_b32 s82, s82, 0xffffff                               // 0000000095D8: 8652FF52 00FFFFFF
	s_cmp_lt_u32 s82, s66                                      // 0000000095E0: BF0A4252
	s_cselect_b32 s21, s36, s60                                // 0000000095E4: 85153C24
	s_mov_b64 exec, s[20:21]                                   // 0000000095E8: BEFE0114
	global_atomic_add_f32 v6, v121, s[8:9]                     // 0000000095EC: DD348000 00087906
	global_atomic_add_f32 v6, v125, s[8:9] offset:256          // 0000000095F4: DD348100 00087D06
	s_mov_b64 exec, s[36:37]                                   // 0000000095FC: BEFE0124
	v_mov_b32_e32 v6, v74                                      // 000000009600: 7E0C034A
	s_mov_b64 s[60:61], 0                                      // 000000009604: BEBC0180
	v_readlane_b32 s82, v3, 24                                 // 000000009608: D2890052 00013103
	s_and_b32 s82, s82, 0xffffff                               // 000000009610: 8652FF52 00FFFFFF
	s_cmp_lt_u32 s82, s66                                      // 000000009618: BF0A4252
	s_cselect_b32 s20, s36, s60                                // 00000000961C: 85143C24
	v_readlane_b32 s82, v3, 25                                 // 000000009620: D2890052 00013303
	s_and_b32 s82, s82, 0xffffff                               // 000000009628: 8652FF52 00FFFFFF
	s_cmp_lt_u32 s82, s66                                      // 000000009630: BF0A4252
	s_cselect_b32 s21, s36, s60                                // 000000009634: 85153C24
	s_mov_b64 exec, s[20:21]                                   // 000000009638: BEFE0114
	global_atomic_add_f32 v6, v128, s[8:9]                     // 00000000963C: DD348000 00088006
	global_atomic_add_f32 v6, v132, s[8:9] offset:256          // 000000009644: DD348100 00088406
	s_mov_b64 exec, s[36:37]                                   // 00000000964C: BEFE0124
	v_mov_b32_e32 v6, v75                                      // 000000009650: 7E0C034B
	s_mov_b64 s[60:61], 0                                      // 000000009654: BEBC0180
	v_readlane_b32 s82, v3, 26                                 // 000000009658: D2890052 00013503
	s_and_b32 s82, s82, 0xffffff                               // 000000009660: 8652FF52 00FFFFFF
	s_cmp_lt_u32 s82, s66                                      // 000000009668: BF0A4252
	s_cselect_b32 s20, s36, s60                                // 00000000966C: 85143C24
	v_readlane_b32 s82, v3, 27                                 // 000000009670: D2890052 00013703
	s_and_b32 s82, s82, 0xffffff                               // 000000009678: 8652FF52 00FFFFFF
	s_cmp_lt_u32 s82, s66                                      // 000000009680: BF0A4252
	s_cselect_b32 s21, s36, s60                                // 000000009684: 85153C24
	s_mov_b64 exec, s[20:21]                                   // 000000009688: BEFE0114
	global_atomic_add_f32 v6, v129, s[8:9]                     // 00000000968C: DD348000 00088106
	global_atomic_add_f32 v6, v133, s[8:9] offset:256          // 000000009694: DD348100 00088506
	s_mov_b64 exec, s[36:37]                                   // 00000000969C: BEFE0124
	v_mov_b32_e32 v6, v76                                      // 0000000096A0: 7E0C034C
	s_mov_b64 s[60:61], 0                                      // 0000000096A4: BEBC0180
	v_readlane_b32 s82, v3, 28                                 // 0000000096A8: D2890052 00013903
	s_and_b32 s82, s82, 0xffffff                               // 0000000096B0: 8652FF52 00FFFFFF
	s_cmp_lt_u32 s82, s66                                      // 0000000096B8: BF0A4252
	s_cselect_b32 s20, s36, s60                                // 0000000096BC: 85143C24
	v_readlane_b32 s82, v3, 29                                 // 0000000096C0: D2890052 00013B03
	s_and_b32 s82, s82, 0xffffff                               // 0000000096C8: 8652FF52 00FFFFFF
	s_cmp_lt_u32 s82, s66                                      // 0000000096D0: BF0A4252
	s_cselect_b32 s21, s36, s60                                // 0000000096D4: 85153C24
	s_mov_b64 exec, s[20:21]                                   // 0000000096D8: BEFE0114
	global_atomic_add_f32 v6, v136, s[8:9]                     // 0000000096DC: DD348000 00088806
	global_atomic_add_f32 v6, v140, s[8:9] offset:256          // 0000000096E4: DD348100 00088C06
	s_mov_b64 exec, s[36:37]                                   // 0000000096EC: BEFE0124
	v_mov_b32_e32 v6, v77                                      // 0000000096F0: 7E0C034D
	s_mov_b64 s[60:61], 0                                      // 0000000096F4: BEBC0180
	v_readlane_b32 s82, v3, 30                                 // 0000000096F8: D2890052 00013D03
	s_and_b32 s82, s82, 0xffffff                               // 000000009700: 8652FF52 00FFFFFF
	s_cmp_lt_u32 s82, s66                                      // 000000009708: BF0A4252
	s_cselect_b32 s20, s36, s60                                // 00000000970C: 85143C24
	v_readlane_b32 s82, v3, 31                                 // 000000009710: D2890052 00013F03
	s_and_b32 s82, s82, 0xffffff                               // 000000009718: 8652FF52 00FFFFFF
	s_cmp_lt_u32 s82, s66                                      // 000000009720: BF0A4252
	s_cselect_b32 s21, s36, s60                                // 000000009724: 85153C24
	s_mov_b64 exec, s[20:21]                                   // 000000009728: BEFE0114
	global_atomic_add_f32 v6, v137, s[8:9]                     // 00000000972C: DD348000 00088906
	global_atomic_add_f32 v6, v141, s[8:9] offset:256          // 000000009734: DD348100 00088D06
	s_mov_b64 exec, s[36:37]                                   // 00000000973C: BEFE0124
	ds_write_b64 v20, v[82:83]                                 // 000000009740: D89A0000 00005214
	ds_write_b64 v20, v[86:87] offset:4352                     // 000000009748: D89A1100 00005614
	ds_write_b64 v20, v[90:91] offset:8704                     // 000000009750: D89A2200 00005A14
	ds_write_b64 v20, v[94:95] offset:13056                    // 000000009758: D89A3300 00005E14
	ds_write_b64 v20, v[98:99] offset:17408                    // 000000009760: D89A4400 00006214
	ds_write_b64 v20, v[102:103] offset:21760                  // 000000009768: D89A5500 00006614
	ds_write_b64 v20, v[106:107] offset:26112                  // 000000009770: D89A6600 00006A14
	ds_write_b64 v20, v[110:111] offset:30464                  // 000000009778: D89A7700 00006E14
	ds_write_b64 v20, v[114:115] offset:2176                   // 000000009780: D89A0880 00007214
	ds_write_b64 v20, v[118:119] offset:6528                   // 000000009788: D89A1980 00007614
	ds_write_b64 v20, v[122:123] offset:10880                  // 000000009790: D89A2A80 00007A14
	ds_write_b64 v20, v[126:127] offset:15232                  // 000000009798: D89A3B80 00007E14
	ds_write_b64 v20, v[130:131] offset:19584                  // 0000000097A0: D89A4C80 00008214
	ds_write_b64 v20, v[134:135] offset:23936                  // 0000000097A8: D89A5D80 00008614
	ds_write_b64 v20, v[138:139] offset:28288                  // 0000000097B0: D89A6E80 00008A14
	ds_write_b64 v20, v[142:143] offset:32640                  // 0000000097B8: D89A7F80 00008E14
	s_waitcnt lgkmcnt(0)                                       // 0000000097C0: BF8CC07F
	s_barrier                                                  // 0000000097C4: BF8A0000
	ds_read_b32 v82, v21                                       // 0000000097C8: D86C0000 52000015
	ds_read_b32 v83, v21 offset:64                             // 0000000097D0: D86C0040 53000015
	ds_read_b32 v86, v21 offset:2176                           // 0000000097D8: D86C0880 56000015
	ds_read_b32 v87, v21 offset:2240                           // 0000000097E0: D86C08C0 57000015
	ds_read_b32 v90, v21 offset:4352                           // 0000000097E8: D86C1100 5A000015
	ds_read_b32 v91, v21 offset:4416                           // 0000000097F0: D86C1140 5B000015
	ds_read_b32 v94, v21 offset:6528                           // 0000000097F8: D86C1980 5E000015
	ds_read_b32 v95, v21 offset:6592                           // 000000009800: D86C19C0 5F000015
	ds_read_b32 v98, v21 offset:8704                           // 000000009808: D86C2200 62000015
	ds_read_b32 v99, v21 offset:8768                           // 000000009810: D86C2240 63000015
	ds_read_b32 v102, v21 offset:10880                         // 000000009818: D86C2A80 66000015
	ds_read_b32 v103, v21 offset:10944                         // 000000009820: D86C2AC0 67000015
	ds_read_b32 v106, v21 offset:13056                         // 000000009828: D86C3300 6A000015
	ds_read_b32 v107, v21 offset:13120                         // 000000009830: D86C3340 6B000015
	ds_read_b32 v110, v21 offset:15232                         // 000000009838: D86C3B80 6E000015
	ds_read_b32 v111, v21 offset:15296                         // 000000009840: D86C3BC0 6F000015
	ds_read_b32 v114, v21 offset:17408                         // 000000009848: D86C4400 72000015
	ds_read_b32 v115, v21 offset:17472                         // 000000009850: D86C4440 73000015
	ds_read_b32 v118, v21 offset:19584                         // 000000009858: D86C4C80 76000015
	ds_read_b32 v119, v21 offset:19648                         // 000000009860: D86C4CC0 77000015
	ds_read_b32 v122, v21 offset:21760                         // 000000009868: D86C5500 7A000015
	ds_read_b32 v123, v21 offset:21824                         // 000000009870: D86C5540 7B000015
	ds_read_b32 v126, v21 offset:23936                         // 000000009878: D86C5D80 7E000015
	ds_read_b32 v127, v21 offset:24000                         // 000000009880: D86C5DC0 7F000015
	ds_read_b32 v130, v21 offset:26112                         // 000000009888: D86C6600 82000015
	ds_read_b32 v131, v21 offset:26176                         // 000000009890: D86C6640 83000015
	ds_read_b32 v134, v21 offset:28288                         // 000000009898: D86C6E80 86000015
	ds_read_b32 v135, v21 offset:28352                         // 0000000098A0: D86C6EC0 87000015
	ds_read_b32 v138, v21 offset:30464                         // 0000000098A8: D86C7700 8A000015
	ds_read_b32 v139, v21 offset:30528                         // 0000000098B0: D86C7740 8B000015
	ds_read_b32 v142, v21 offset:32640                         // 0000000098B8: D86C7F80 8E000015
	ds_read_b32 v143, v21 offset:32704                         // 0000000098C0: D86C7FC0 8F000015
	s_waitcnt lgkmcnt(0)                                       // 0000000098C8: BF8CC07F
	v_mov_b32_e32 v7, 0                                        // 0000000098CC: 7E0E0280
	s_mov_b64 exec, s[36:37]                                   // 0000000098D0: BEFE0124
	v_mov_b32_e32 v6, v62                                      // 0000000098D4: 7E0C033E
	s_mov_b64 s[60:61], 0                                      // 0000000098D8: BEBC0180
	v_readlane_b32 s82, v3, 0                                  // 0000000098DC: D2890052 00010103
	s_and_b32 s82, s82, 0xffffff                               // 0000000098E4: 8652FF52 00FFFFFF
	s_cmp_lt_u32 s82, s66                                      // 0000000098EC: BF0A4252
	s_cselect_b32 s20, s36, s60                                // 0000000098F0: 85143C24
	v_readlane_b32 s82, v3, 1                                  // 0000000098F4: D2890052 00010303
	s_and_b32 s82, s82, 0xffffff                               // 0000000098FC: 8652FF52 00FFFFFF
	s_cmp_lt_u32 s82, s66                                      // 000000009904: BF0A4252
	s_cselect_b32 s21, s36, s60                                // 000000009908: 85153C24
	s_mov_b64 exec, s[20:21]                                   // 00000000990C: BEFE0114
	global_atomic_add_f32 v6, v82, s[8:9] offset:8             // 000000009910: DD348008 00085206
	global_atomic_add_f32 v6, v86, s[8:9] offset:264           // 000000009918: DD348108 00085606
	s_mov_b64 exec, s[36:37]                                   // 000000009920: BEFE0124
	v_mov_b32_e32 v6, v63                                      // 000000009924: 7E0C033F
	s_mov_b64 s[60:61], 0                                      // 000000009928: BEBC0180
	v_readlane_b32 s82, v3, 2                                  // 00000000992C: D2890052 00010503
	s_and_b32 s82, s82, 0xffffff                               // 000000009934: 8652FF52 00FFFFFF
	s_cmp_lt_u32 s82, s66                                      // 00000000993C: BF0A4252
	s_cselect_b32 s20, s36, s60                                // 000000009940: 85143C24
	v_readlane_b32 s82, v3, 3                                  // 000000009944: D2890052 00010703
	s_and_b32 s82, s82, 0xffffff                               // 00000000994C: 8652FF52 00FFFFFF
	s_cmp_lt_u32 s82, s66                                      // 000000009954: BF0A4252
	s_cselect_b32 s21, s36, s60                                // 000000009958: 85153C24
	s_mov_b64 exec, s[20:21]                                   // 00000000995C: BEFE0114
	global_atomic_add_f32 v6, v83, s[8:9] offset:8             // 000000009960: DD348008 00085306
	global_atomic_add_f32 v6, v87, s[8:9] offset:264           // 000000009968: DD348108 00085706
	s_mov_b64 exec, s[36:37]                                   // 000000009970: BEFE0124
	v_mov_b32_e32 v6, v64                                      // 000000009974: 7E0C0340
	s_mov_b64 s[60:61], 0                                      // 000000009978: BEBC0180
	v_readlane_b32 s82, v3, 4                                  // 00000000997C: D2890052 00010903
	s_and_b32 s82, s82, 0xffffff                               // 000000009984: 8652FF52 00FFFFFF
	s_cmp_lt_u32 s82, s66                                      // 00000000998C: BF0A4252
	s_cselect_b32 s20, s36, s60                                // 000000009990: 85143C24
	v_readlane_b32 s82, v3, 5                                  // 000000009994: D2890052 00010B03
	s_and_b32 s82, s82, 0xffffff                               // 00000000999C: 8652FF52 00FFFFFF
	s_cmp_lt_u32 s82, s66                                      // 0000000099A4: BF0A4252
	s_cselect_b32 s21, s36, s60                                // 0000000099A8: 85153C24
	s_mov_b64 exec, s[20:21]                                   // 0000000099AC: BEFE0114
	global_atomic_add_f32 v6, v90, s[8:9] offset:8             // 0000000099B0: DD348008 00085A06
	global_atomic_add_f32 v6, v94, s[8:9] offset:264           // 0000000099B8: DD348108 00085E06
	s_mov_b64 exec, s[36:37]                                   // 0000000099C0: BEFE0124
	v_mov_b32_e32 v6, v65                                      // 0000000099C4: 7E0C0341
	s_mov_b64 s[60:61], 0                                      // 0000000099C8: BEBC0180
	v_readlane_b32 s82, v3, 6                                  // 0000000099CC: D2890052 00010D03
	s_and_b32 s82, s82, 0xffffff                               // 0000000099D4: 8652FF52 00FFFFFF
	s_cmp_lt_u32 s82, s66                                      // 0000000099DC: BF0A4252
	s_cselect_b32 s20, s36, s60                                // 0000000099E0: 85143C24
	v_readlane_b32 s82, v3, 7                                  // 0000000099E4: D2890052 00010F03
	s_and_b32 s82, s82, 0xffffff                               // 0000000099EC: 8652FF52 00FFFFFF
	s_cmp_lt_u32 s82, s66                                      // 0000000099F4: BF0A4252
	s_cselect_b32 s21, s36, s60                                // 0000000099F8: 85153C24
	s_mov_b64 exec, s[20:21]                                   // 0000000099FC: BEFE0114
	global_atomic_add_f32 v6, v91, s[8:9] offset:8             // 000000009A00: DD348008 00085B06
	global_atomic_add_f32 v6, v95, s[8:9] offset:264           // 000000009A08: DD348108 00085F06
	s_mov_b64 exec, s[36:37]                                   // 000000009A10: BEFE0124
	v_mov_b32_e32 v6, v66                                      // 000000009A14: 7E0C0342
	s_mov_b64 s[60:61], 0                                      // 000000009A18: BEBC0180
	v_readlane_b32 s82, v3, 8                                  // 000000009A1C: D2890052 00011103
	s_and_b32 s82, s82, 0xffffff                               // 000000009A24: 8652FF52 00FFFFFF
	s_cmp_lt_u32 s82, s66                                      // 000000009A2C: BF0A4252
	s_cselect_b32 s20, s36, s60                                // 000000009A30: 85143C24
	v_readlane_b32 s82, v3, 9                                  // 000000009A34: D2890052 00011303
	s_and_b32 s82, s82, 0xffffff                               // 000000009A3C: 8652FF52 00FFFFFF
	s_cmp_lt_u32 s82, s66                                      // 000000009A44: BF0A4252
	s_cselect_b32 s21, s36, s60                                // 000000009A48: 85153C24
	s_mov_b64 exec, s[20:21]                                   // 000000009A4C: BEFE0114
	global_atomic_add_f32 v6, v98, s[8:9] offset:8             // 000000009A50: DD348008 00086206
	global_atomic_add_f32 v6, v102, s[8:9] offset:264          // 000000009A58: DD348108 00086606
	s_mov_b64 exec, s[36:37]                                   // 000000009A60: BEFE0124
	v_mov_b32_e32 v6, v67                                      // 000000009A64: 7E0C0343
	s_mov_b64 s[60:61], 0                                      // 000000009A68: BEBC0180
	v_readlane_b32 s82, v3, 10                                 // 000000009A6C: D2890052 00011503
	s_and_b32 s82, s82, 0xffffff                               // 000000009A74: 8652FF52 00FFFFFF
	s_cmp_lt_u32 s82, s66                                      // 000000009A7C: BF0A4252
	s_cselect_b32 s20, s36, s60                                // 000000009A80: 85143C24
	v_readlane_b32 s82, v3, 11                                 // 000000009A84: D2890052 00011703
	s_and_b32 s82, s82, 0xffffff                               // 000000009A8C: 8652FF52 00FFFFFF
	s_cmp_lt_u32 s82, s66                                      // 000000009A94: BF0A4252
	s_cselect_b32 s21, s36, s60                                // 000000009A98: 85153C24
	s_mov_b64 exec, s[20:21]                                   // 000000009A9C: BEFE0114
	global_atomic_add_f32 v6, v99, s[8:9] offset:8             // 000000009AA0: DD348008 00086306
	global_atomic_add_f32 v6, v103, s[8:9] offset:264          // 000000009AA8: DD348108 00086706
	s_mov_b64 exec, s[36:37]                                   // 000000009AB0: BEFE0124
	v_mov_b32_e32 v6, v68                                      // 000000009AB4: 7E0C0344
	s_mov_b64 s[60:61], 0                                      // 000000009AB8: BEBC0180
	v_readlane_b32 s82, v3, 12                                 // 000000009ABC: D2890052 00011903
	s_and_b32 s82, s82, 0xffffff                               // 000000009AC4: 8652FF52 00FFFFFF
	s_cmp_lt_u32 s82, s66                                      // 000000009ACC: BF0A4252
	s_cselect_b32 s20, s36, s60                                // 000000009AD0: 85143C24
	v_readlane_b32 s82, v3, 13                                 // 000000009AD4: D2890052 00011B03
	s_and_b32 s82, s82, 0xffffff                               // 000000009ADC: 8652FF52 00FFFFFF
	s_cmp_lt_u32 s82, s66                                      // 000000009AE4: BF0A4252
	s_cselect_b32 s21, s36, s60                                // 000000009AE8: 85153C24
	s_mov_b64 exec, s[20:21]                                   // 000000009AEC: BEFE0114
	global_atomic_add_f32 v6, v106, s[8:9] offset:8            // 000000009AF0: DD348008 00086A06
	global_atomic_add_f32 v6, v110, s[8:9] offset:264          // 000000009AF8: DD348108 00086E06
	s_mov_b64 exec, s[36:37]                                   // 000000009B00: BEFE0124
	v_mov_b32_e32 v6, v69                                      // 000000009B04: 7E0C0345
	s_mov_b64 s[60:61], 0                                      // 000000009B08: BEBC0180
	v_readlane_b32 s82, v3, 14                                 // 000000009B0C: D2890052 00011D03
	s_and_b32 s82, s82, 0xffffff                               // 000000009B14: 8652FF52 00FFFFFF
	s_cmp_lt_u32 s82, s66                                      // 000000009B1C: BF0A4252
	s_cselect_b32 s20, s36, s60                                // 000000009B20: 85143C24
	v_readlane_b32 s82, v3, 15                                 // 000000009B24: D2890052 00011F03
	s_and_b32 s82, s82, 0xffffff                               // 000000009B2C: 8652FF52 00FFFFFF
	s_cmp_lt_u32 s82, s66                                      // 000000009B34: BF0A4252
	s_cselect_b32 s21, s36, s60                                // 000000009B38: 85153C24
	s_mov_b64 exec, s[20:21]                                   // 000000009B3C: BEFE0114
	global_atomic_add_f32 v6, v107, s[8:9] offset:8            // 000000009B40: DD348008 00086B06
	global_atomic_add_f32 v6, v111, s[8:9] offset:264          // 000000009B48: DD348108 00086F06
	s_mov_b64 exec, s[36:37]                                   // 000000009B50: BEFE0124
	v_mov_b32_e32 v6, v70                                      // 000000009B54: 7E0C0346
	s_mov_b64 s[60:61], 0                                      // 000000009B58: BEBC0180
	v_readlane_b32 s82, v3, 16                                 // 000000009B5C: D2890052 00012103
	s_and_b32 s82, s82, 0xffffff                               // 000000009B64: 8652FF52 00FFFFFF
	s_cmp_lt_u32 s82, s66                                      // 000000009B6C: BF0A4252
	s_cselect_b32 s20, s36, s60                                // 000000009B70: 85143C24
	v_readlane_b32 s82, v3, 17                                 // 000000009B74: D2890052 00012303
	s_and_b32 s82, s82, 0xffffff                               // 000000009B7C: 8652FF52 00FFFFFF
	s_cmp_lt_u32 s82, s66                                      // 000000009B84: BF0A4252
	s_cselect_b32 s21, s36, s60                                // 000000009B88: 85153C24
	s_mov_b64 exec, s[20:21]                                   // 000000009B8C: BEFE0114
	global_atomic_add_f32 v6, v114, s[8:9] offset:8            // 000000009B90: DD348008 00087206
	global_atomic_add_f32 v6, v118, s[8:9] offset:264          // 000000009B98: DD348108 00087606
	s_mov_b64 exec, s[36:37]                                   // 000000009BA0: BEFE0124
	v_mov_b32_e32 v6, v71                                      // 000000009BA4: 7E0C0347
	s_mov_b64 s[60:61], 0                                      // 000000009BA8: BEBC0180
	v_readlane_b32 s82, v3, 18                                 // 000000009BAC: D2890052 00012503
	s_and_b32 s82, s82, 0xffffff                               // 000000009BB4: 8652FF52 00FFFFFF
	s_cmp_lt_u32 s82, s66                                      // 000000009BBC: BF0A4252
	s_cselect_b32 s20, s36, s60                                // 000000009BC0: 85143C24
	v_readlane_b32 s82, v3, 19                                 // 000000009BC4: D2890052 00012703
	s_and_b32 s82, s82, 0xffffff                               // 000000009BCC: 8652FF52 00FFFFFF
	s_cmp_lt_u32 s82, s66                                      // 000000009BD4: BF0A4252
	s_cselect_b32 s21, s36, s60                                // 000000009BD8: 85153C24
	s_mov_b64 exec, s[20:21]                                   // 000000009BDC: BEFE0114
	global_atomic_add_f32 v6, v115, s[8:9] offset:8            // 000000009BE0: DD348008 00087306
	global_atomic_add_f32 v6, v119, s[8:9] offset:264          // 000000009BE8: DD348108 00087706
	s_mov_b64 exec, s[36:37]                                   // 000000009BF0: BEFE0124
	v_mov_b32_e32 v6, v72                                      // 000000009BF4: 7E0C0348
	s_mov_b64 s[60:61], 0                                      // 000000009BF8: BEBC0180
	v_readlane_b32 s82, v3, 20                                 // 000000009BFC: D2890052 00012903
	s_and_b32 s82, s82, 0xffffff                               // 000000009C04: 8652FF52 00FFFFFF
	s_cmp_lt_u32 s82, s66                                      // 000000009C0C: BF0A4252
	s_cselect_b32 s20, s36, s60                                // 000000009C10: 85143C24
	v_readlane_b32 s82, v3, 21                                 // 000000009C14: D2890052 00012B03
	s_and_b32 s82, s82, 0xffffff                               // 000000009C1C: 8652FF52 00FFFFFF
	s_cmp_lt_u32 s82, s66                                      // 000000009C24: BF0A4252
	s_cselect_b32 s21, s36, s60                                // 000000009C28: 85153C24
	s_mov_b64 exec, s[20:21]                                   // 000000009C2C: BEFE0114
	global_atomic_add_f32 v6, v122, s[8:9] offset:8            // 000000009C30: DD348008 00087A06
	global_atomic_add_f32 v6, v126, s[8:9] offset:264          // 000000009C38: DD348108 00087E06
	s_mov_b64 exec, s[36:37]                                   // 000000009C40: BEFE0124
	v_mov_b32_e32 v6, v73                                      // 000000009C44: 7E0C0349
	s_mov_b64 s[60:61], 0                                      // 000000009C48: BEBC0180
	v_readlane_b32 s82, v3, 22                                 // 000000009C4C: D2890052 00012D03
	s_and_b32 s82, s82, 0xffffff                               // 000000009C54: 8652FF52 00FFFFFF
	s_cmp_lt_u32 s82, s66                                      // 000000009C5C: BF0A4252
	s_cselect_b32 s20, s36, s60                                // 000000009C60: 85143C24
	v_readlane_b32 s82, v3, 23                                 // 000000009C64: D2890052 00012F03
	s_and_b32 s82, s82, 0xffffff                               // 000000009C6C: 8652FF52 00FFFFFF
	s_cmp_lt_u32 s82, s66                                      // 000000009C74: BF0A4252
	s_cselect_b32 s21, s36, s60                                // 000000009C78: 85153C24
	s_mov_b64 exec, s[20:21]                                   // 000000009C7C: BEFE0114
	global_atomic_add_f32 v6, v123, s[8:9] offset:8            // 000000009C80: DD348008 00087B06
	global_atomic_add_f32 v6, v127, s[8:9] offset:264          // 000000009C88: DD348108 00087F06
	s_mov_b64 exec, s[36:37]                                   // 000000009C90: BEFE0124
	v_mov_b32_e32 v6, v74                                      // 000000009C94: 7E0C034A
	s_mov_b64 s[60:61], 0                                      // 000000009C98: BEBC0180
	v_readlane_b32 s82, v3, 24                                 // 000000009C9C: D2890052 00013103
	s_and_b32 s82, s82, 0xffffff                               // 000000009CA4: 8652FF52 00FFFFFF
	s_cmp_lt_u32 s82, s66                                      // 000000009CAC: BF0A4252
	s_cselect_b32 s20, s36, s60                                // 000000009CB0: 85143C24
	v_readlane_b32 s82, v3, 25                                 // 000000009CB4: D2890052 00013303
	s_and_b32 s82, s82, 0xffffff                               // 000000009CBC: 8652FF52 00FFFFFF
	s_cmp_lt_u32 s82, s66                                      // 000000009CC4: BF0A4252
	s_cselect_b32 s21, s36, s60                                // 000000009CC8: 85153C24
	s_mov_b64 exec, s[20:21]                                   // 000000009CCC: BEFE0114
	global_atomic_add_f32 v6, v130, s[8:9] offset:8            // 000000009CD0: DD348008 00088206
	global_atomic_add_f32 v6, v134, s[8:9] offset:264          // 000000009CD8: DD348108 00088606
	s_mov_b64 exec, s[36:37]                                   // 000000009CE0: BEFE0124
	v_mov_b32_e32 v6, v75                                      // 000000009CE4: 7E0C034B
	s_mov_b64 s[60:61], 0                                      // 000000009CE8: BEBC0180
	v_readlane_b32 s82, v3, 26                                 // 000000009CEC: D2890052 00013503
	s_and_b32 s82, s82, 0xffffff                               // 000000009CF4: 8652FF52 00FFFFFF
	s_cmp_lt_u32 s82, s66                                      // 000000009CFC: BF0A4252
	s_cselect_b32 s20, s36, s60                                // 000000009D00: 85143C24
	v_readlane_b32 s82, v3, 27                                 // 000000009D04: D2890052 00013703
	s_and_b32 s82, s82, 0xffffff                               // 000000009D0C: 8652FF52 00FFFFFF
	s_cmp_lt_u32 s82, s66                                      // 000000009D14: BF0A4252
	s_cselect_b32 s21, s36, s60                                // 000000009D18: 85153C24
	s_mov_b64 exec, s[20:21]                                   // 000000009D1C: BEFE0114
	global_atomic_add_f32 v6, v131, s[8:9] offset:8            // 000000009D20: DD348008 00088306
	global_atomic_add_f32 v6, v135, s[8:9] offset:264          // 000000009D28: DD348108 00088706
	s_mov_b64 exec, s[36:37]                                   // 000000009D30: BEFE0124
	v_mov_b32_e32 v6, v76                                      // 000000009D34: 7E0C034C
	s_mov_b64 s[60:61], 0                                      // 000000009D38: BEBC0180
	v_readlane_b32 s82, v3, 28                                 // 000000009D3C: D2890052 00013903
	s_and_b32 s82, s82, 0xffffff                               // 000000009D44: 8652FF52 00FFFFFF
	s_cmp_lt_u32 s82, s66                                      // 000000009D4C: BF0A4252
	s_cselect_b32 s20, s36, s60                                // 000000009D50: 85143C24
	v_readlane_b32 s82, v3, 29                                 // 000000009D54: D2890052 00013B03
	s_and_b32 s82, s82, 0xffffff                               // 000000009D5C: 8652FF52 00FFFFFF
	s_cmp_lt_u32 s82, s66                                      // 000000009D64: BF0A4252
	s_cselect_b32 s21, s36, s60                                // 000000009D68: 85153C24
	s_mov_b64 exec, s[20:21]                                   // 000000009D6C: BEFE0114
	global_atomic_add_f32 v6, v138, s[8:9] offset:8            // 000000009D70: DD348008 00088A06
	global_atomic_add_f32 v6, v142, s[8:9] offset:264          // 000000009D78: DD348108 00088E06
	s_mov_b64 exec, s[36:37]                                   // 000000009D80: BEFE0124
	v_mov_b32_e32 v6, v77                                      // 000000009D84: 7E0C034D
	s_mov_b64 s[60:61], 0                                      // 000000009D88: BEBC0180
	v_readlane_b32 s82, v3, 30                                 // 000000009D8C: D2890052 00013D03
	s_and_b32 s82, s82, 0xffffff                               // 000000009D94: 8652FF52 00FFFFFF
	s_cmp_lt_u32 s82, s66                                      // 000000009D9C: BF0A4252
	s_cselect_b32 s20, s36, s60                                // 000000009DA0: 85143C24
	v_readlane_b32 s82, v3, 31                                 // 000000009DA4: D2890052 00013F03
	s_and_b32 s82, s82, 0xffffff                               // 000000009DAC: 8652FF52 00FFFFFF
	s_cmp_lt_u32 s82, s66                                      // 000000009DB4: BF0A4252
	s_cselect_b32 s21, s36, s60                                // 000000009DB8: 85153C24
	s_mov_b64 exec, s[20:21]                                   // 000000009DBC: BEFE0114
	global_atomic_add_f32 v6, v139, s[8:9] offset:8            // 000000009DC0: DD348008 00088B06
	global_atomic_add_f32 v6, v143, s[8:9] offset:264          // 000000009DC8: DD348108 00088F06
	s_mov_b64 exec, s[36:37]                                   // 000000009DD0: BEFE0124
	ds_write_b64 v20, v[144:145]                               // 000000009DD4: D89A0000 00009014
	ds_write_b64 v20, v[148:149] offset:4352                   // 000000009DDC: D89A1100 00009414
	ds_write_b64 v20, v[152:153] offset:8704                   // 000000009DE4: D89A2200 00009814
	ds_write_b64 v20, v[156:157] offset:13056                  // 000000009DEC: D89A3300 00009C14
	ds_write_b64 v20, v[160:161] offset:17408                  // 000000009DF4: D89A4400 0000A014
	ds_write_b64 v20, v[164:165] offset:21760                  // 000000009DFC: D89A5500 0000A414
	ds_write_b64 v20, v[168:169] offset:26112                  // 000000009E04: D89A6600 0000A814
	ds_write_b64 v20, v[172:173] offset:30464                  // 000000009E0C: D89A7700 0000AC14
	ds_write_b64 v20, v[176:177] offset:2176                   // 000000009E14: D89A0880 0000B014
	ds_write_b64 v20, v[180:181] offset:6528                   // 000000009E1C: D89A1980 0000B414
	ds_write_b64 v20, v[184:185] offset:10880                  // 000000009E24: D89A2A80 0000B814
	ds_write_b64 v20, v[188:189] offset:15232                  // 000000009E2C: D89A3B80 0000BC14
	ds_write_b64 v20, v[192:193] offset:19584                  // 000000009E34: D89A4C80 0000C014
	ds_write_b64 v20, v[196:197] offset:23936                  // 000000009E3C: D89A5D80 0000C414
	ds_write_b64 v20, v[200:201] offset:28288                  // 000000009E44: D89A6E80 0000C814
	ds_write_b64 v20, v[204:205] offset:32640                  // 000000009E4C: D89A7F80 0000CC14
	s_waitcnt lgkmcnt(0)                                       // 000000009E54: BF8CC07F
	s_barrier                                                  // 000000009E58: BF8A0000
	ds_read_b32 v144, v21                                      // 000000009E5C: D86C0000 90000015
	ds_read_b32 v145, v21 offset:64                            // 000000009E64: D86C0040 91000015
	ds_read_b32 v148, v21 offset:2176                          // 000000009E6C: D86C0880 94000015
	ds_read_b32 v149, v21 offset:2240                          // 000000009E74: D86C08C0 95000015
	ds_read_b32 v152, v21 offset:4352                          // 000000009E7C: D86C1100 98000015
	ds_read_b32 v153, v21 offset:4416                          // 000000009E84: D86C1140 99000015
	ds_read_b32 v156, v21 offset:6528                          // 000000009E8C: D86C1980 9C000015
	ds_read_b32 v157, v21 offset:6592                          // 000000009E94: D86C19C0 9D000015
	ds_read_b32 v160, v21 offset:8704                          // 000000009E9C: D86C2200 A0000015
	ds_read_b32 v161, v21 offset:8768                          // 000000009EA4: D86C2240 A1000015
	ds_read_b32 v164, v21 offset:10880                         // 000000009EAC: D86C2A80 A4000015
	ds_read_b32 v165, v21 offset:10944                         // 000000009EB4: D86C2AC0 A5000015
	ds_read_b32 v168, v21 offset:13056                         // 000000009EBC: D86C3300 A8000015
	ds_read_b32 v169, v21 offset:13120                         // 000000009EC4: D86C3340 A9000015
	ds_read_b32 v172, v21 offset:15232                         // 000000009ECC: D86C3B80 AC000015
	ds_read_b32 v173, v21 offset:15296                         // 000000009ED4: D86C3BC0 AD000015
	ds_read_b32 v176, v21 offset:17408                         // 000000009EDC: D86C4400 B0000015
	ds_read_b32 v177, v21 offset:17472                         // 000000009EE4: D86C4440 B1000015
	ds_read_b32 v180, v21 offset:19584                         // 000000009EEC: D86C4C80 B4000015
	ds_read_b32 v181, v21 offset:19648                         // 000000009EF4: D86C4CC0 B5000015
	ds_read_b32 v184, v21 offset:21760                         // 000000009EFC: D86C5500 B8000015
	ds_read_b32 v185, v21 offset:21824                         // 000000009F04: D86C5540 B9000015
	ds_read_b32 v188, v21 offset:23936                         // 000000009F0C: D86C5D80 BC000015
	ds_read_b32 v189, v21 offset:24000                         // 000000009F14: D86C5DC0 BD000015
	ds_read_b32 v192, v21 offset:26112                         // 000000009F1C: D86C6600 C0000015
	ds_read_b32 v193, v21 offset:26176                         // 000000009F24: D86C6640 C1000015
	ds_read_b32 v196, v21 offset:28288                         // 000000009F2C: D86C6E80 C4000015
	ds_read_b32 v197, v21 offset:28352                         // 000000009F34: D86C6EC0 C5000015
	ds_read_b32 v200, v21 offset:30464                         // 000000009F3C: D86C7700 C8000015
	ds_read_b32 v201, v21 offset:30528                         // 000000009F44: D86C7740 C9000015
	ds_read_b32 v204, v21 offset:32640                         // 000000009F4C: D86C7F80 CC000015
	ds_read_b32 v205, v21 offset:32704                         // 000000009F54: D86C7FC0 CD000015
	s_mul_i32 s60, s65, 4                                      // 000000009F5C: 923C8441
	s_add_u32 s8, s60, s8                                      // 000000009F60: 8008083C
	s_addc_u32 s9, 0, s9                                       // 000000009F64: 82090980
	s_waitcnt lgkmcnt(0)                                       // 000000009F68: BF8CC07F
	v_mov_b32_e32 v7, 0                                        // 000000009F6C: 7E0E0280
	s_mov_b64 exec, s[36:37]                                   // 000000009F70: BEFE0124
	v_mov_b32_e32 v6, v62                                      // 000000009F74: 7E0C033E
	s_mov_b64 s[60:61], 0                                      // 000000009F78: BEBC0180
	v_readlane_b32 s82, v3, 0                                  // 000000009F7C: D2890052 00010103
	s_and_b32 s82, s82, 0xffffff                               // 000000009F84: 8652FF52 00FFFFFF
	s_cmp_lt_u32 s82, s66                                      // 000000009F8C: BF0A4252
	s_cselect_b32 s20, s36, s60                                // 000000009F90: 85143C24
	v_readlane_b32 s82, v3, 1                                  // 000000009F94: D2890052 00010303
	s_and_b32 s82, s82, 0xffffff                               // 000000009F9C: 8652FF52 00FFFFFF
	s_cmp_lt_u32 s82, s66                                      // 000000009FA4: BF0A4252
	s_cselect_b32 s21, s36, s60                                // 000000009FA8: 85153C24
	s_mov_b64 exec, s[20:21]                                   // 000000009FAC: BEFE0114
	global_atomic_add_f32 v6, v144, s[8:9]                     // 000000009FB0: DD348000 00089006
	global_atomic_add_f32 v6, v148, s[8:9] offset:256          // 000000009FB8: DD348100 00089406
	s_mov_b64 exec, s[36:37]                                   // 000000009FC0: BEFE0124
	v_mov_b32_e32 v6, v63                                      // 000000009FC4: 7E0C033F
	s_mov_b64 s[60:61], 0                                      // 000000009FC8: BEBC0180
	v_readlane_b32 s82, v3, 2                                  // 000000009FCC: D2890052 00010503
	s_and_b32 s82, s82, 0xffffff                               // 000000009FD4: 8652FF52 00FFFFFF
	s_cmp_lt_u32 s82, s66                                      // 000000009FDC: BF0A4252
	s_cselect_b32 s20, s36, s60                                // 000000009FE0: 85143C24
	v_readlane_b32 s82, v3, 3                                  // 000000009FE4: D2890052 00010703
	s_and_b32 s82, s82, 0xffffff                               // 000000009FEC: 8652FF52 00FFFFFF
	s_cmp_lt_u32 s82, s66                                      // 000000009FF4: BF0A4252
	s_cselect_b32 s21, s36, s60                                // 000000009FF8: 85153C24
	s_mov_b64 exec, s[20:21]                                   // 000000009FFC: BEFE0114
	global_atomic_add_f32 v6, v145, s[8:9]                     // 00000000A000: DD348000 00089106
	global_atomic_add_f32 v6, v149, s[8:9] offset:256          // 00000000A008: DD348100 00089506
	s_mov_b64 exec, s[36:37]                                   // 00000000A010: BEFE0124
	v_mov_b32_e32 v6, v64                                      // 00000000A014: 7E0C0340
	s_mov_b64 s[60:61], 0                                      // 00000000A018: BEBC0180
	v_readlane_b32 s82, v3, 4                                  // 00000000A01C: D2890052 00010903
	s_and_b32 s82, s82, 0xffffff                               // 00000000A024: 8652FF52 00FFFFFF
	s_cmp_lt_u32 s82, s66                                      // 00000000A02C: BF0A4252
	s_cselect_b32 s20, s36, s60                                // 00000000A030: 85143C24
	v_readlane_b32 s82, v3, 5                                  // 00000000A034: D2890052 00010B03
	s_and_b32 s82, s82, 0xffffff                               // 00000000A03C: 8652FF52 00FFFFFF
	s_cmp_lt_u32 s82, s66                                      // 00000000A044: BF0A4252
	s_cselect_b32 s21, s36, s60                                // 00000000A048: 85153C24
	s_mov_b64 exec, s[20:21]                                   // 00000000A04C: BEFE0114
	global_atomic_add_f32 v6, v152, s[8:9]                     // 00000000A050: DD348000 00089806
	global_atomic_add_f32 v6, v156, s[8:9] offset:256          // 00000000A058: DD348100 00089C06
	s_mov_b64 exec, s[36:37]                                   // 00000000A060: BEFE0124
	v_mov_b32_e32 v6, v65                                      // 00000000A064: 7E0C0341
	s_mov_b64 s[60:61], 0                                      // 00000000A068: BEBC0180
	v_readlane_b32 s82, v3, 6                                  // 00000000A06C: D2890052 00010D03
	s_and_b32 s82, s82, 0xffffff                               // 00000000A074: 8652FF52 00FFFFFF
	s_cmp_lt_u32 s82, s66                                      // 00000000A07C: BF0A4252
	s_cselect_b32 s20, s36, s60                                // 00000000A080: 85143C24
	v_readlane_b32 s82, v3, 7                                  // 00000000A084: D2890052 00010F03
	s_and_b32 s82, s82, 0xffffff                               // 00000000A08C: 8652FF52 00FFFFFF
	s_cmp_lt_u32 s82, s66                                      // 00000000A094: BF0A4252
	s_cselect_b32 s21, s36, s60                                // 00000000A098: 85153C24
	s_mov_b64 exec, s[20:21]                                   // 00000000A09C: BEFE0114
	global_atomic_add_f32 v6, v153, s[8:9]                     // 00000000A0A0: DD348000 00089906
	global_atomic_add_f32 v6, v157, s[8:9] offset:256          // 00000000A0A8: DD348100 00089D06
	s_mov_b64 exec, s[36:37]                                   // 00000000A0B0: BEFE0124
	v_mov_b32_e32 v6, v66                                      // 00000000A0B4: 7E0C0342
	s_mov_b64 s[60:61], 0                                      // 00000000A0B8: BEBC0180
	v_readlane_b32 s82, v3, 8                                  // 00000000A0BC: D2890052 00011103
	s_and_b32 s82, s82, 0xffffff                               // 00000000A0C4: 8652FF52 00FFFFFF
	s_cmp_lt_u32 s82, s66                                      // 00000000A0CC: BF0A4252
	s_cselect_b32 s20, s36, s60                                // 00000000A0D0: 85143C24
	v_readlane_b32 s82, v3, 9                                  // 00000000A0D4: D2890052 00011303
	s_and_b32 s82, s82, 0xffffff                               // 00000000A0DC: 8652FF52 00FFFFFF
	s_cmp_lt_u32 s82, s66                                      // 00000000A0E4: BF0A4252
	s_cselect_b32 s21, s36, s60                                // 00000000A0E8: 85153C24
	s_mov_b64 exec, s[20:21]                                   // 00000000A0EC: BEFE0114
	global_atomic_add_f32 v6, v160, s[8:9]                     // 00000000A0F0: DD348000 0008A006
	global_atomic_add_f32 v6, v164, s[8:9] offset:256          // 00000000A0F8: DD348100 0008A406
	s_mov_b64 exec, s[36:37]                                   // 00000000A100: BEFE0124
	v_mov_b32_e32 v6, v67                                      // 00000000A104: 7E0C0343
	s_mov_b64 s[60:61], 0                                      // 00000000A108: BEBC0180
	v_readlane_b32 s82, v3, 10                                 // 00000000A10C: D2890052 00011503
	s_and_b32 s82, s82, 0xffffff                               // 00000000A114: 8652FF52 00FFFFFF
	s_cmp_lt_u32 s82, s66                                      // 00000000A11C: BF0A4252
	s_cselect_b32 s20, s36, s60                                // 00000000A120: 85143C24
	v_readlane_b32 s82, v3, 11                                 // 00000000A124: D2890052 00011703
	s_and_b32 s82, s82, 0xffffff                               // 00000000A12C: 8652FF52 00FFFFFF
	s_cmp_lt_u32 s82, s66                                      // 00000000A134: BF0A4252
	s_cselect_b32 s21, s36, s60                                // 00000000A138: 85153C24
	s_mov_b64 exec, s[20:21]                                   // 00000000A13C: BEFE0114
	global_atomic_add_f32 v6, v161, s[8:9]                     // 00000000A140: DD348000 0008A106
	global_atomic_add_f32 v6, v165, s[8:9] offset:256          // 00000000A148: DD348100 0008A506
	s_mov_b64 exec, s[36:37]                                   // 00000000A150: BEFE0124
	v_mov_b32_e32 v6, v68                                      // 00000000A154: 7E0C0344
	s_mov_b64 s[60:61], 0                                      // 00000000A158: BEBC0180
	v_readlane_b32 s82, v3, 12                                 // 00000000A15C: D2890052 00011903
	s_and_b32 s82, s82, 0xffffff                               // 00000000A164: 8652FF52 00FFFFFF
	s_cmp_lt_u32 s82, s66                                      // 00000000A16C: BF0A4252
	s_cselect_b32 s20, s36, s60                                // 00000000A170: 85143C24
	v_readlane_b32 s82, v3, 13                                 // 00000000A174: D2890052 00011B03
	s_and_b32 s82, s82, 0xffffff                               // 00000000A17C: 8652FF52 00FFFFFF
	s_cmp_lt_u32 s82, s66                                      // 00000000A184: BF0A4252
	s_cselect_b32 s21, s36, s60                                // 00000000A188: 85153C24
	s_mov_b64 exec, s[20:21]                                   // 00000000A18C: BEFE0114
	global_atomic_add_f32 v6, v168, s[8:9]                     // 00000000A190: DD348000 0008A806
	global_atomic_add_f32 v6, v172, s[8:9] offset:256          // 00000000A198: DD348100 0008AC06
	s_mov_b64 exec, s[36:37]                                   // 00000000A1A0: BEFE0124
	v_mov_b32_e32 v6, v69                                      // 00000000A1A4: 7E0C0345
	s_mov_b64 s[60:61], 0                                      // 00000000A1A8: BEBC0180
	v_readlane_b32 s82, v3, 14                                 // 00000000A1AC: D2890052 00011D03
	s_and_b32 s82, s82, 0xffffff                               // 00000000A1B4: 8652FF52 00FFFFFF
	s_cmp_lt_u32 s82, s66                                      // 00000000A1BC: BF0A4252
	s_cselect_b32 s20, s36, s60                                // 00000000A1C0: 85143C24
	v_readlane_b32 s82, v3, 15                                 // 00000000A1C4: D2890052 00011F03
	s_and_b32 s82, s82, 0xffffff                               // 00000000A1CC: 8652FF52 00FFFFFF
	s_cmp_lt_u32 s82, s66                                      // 00000000A1D4: BF0A4252
	s_cselect_b32 s21, s36, s60                                // 00000000A1D8: 85153C24
	s_mov_b64 exec, s[20:21]                                   // 00000000A1DC: BEFE0114
	global_atomic_add_f32 v6, v169, s[8:9]                     // 00000000A1E0: DD348000 0008A906
	global_atomic_add_f32 v6, v173, s[8:9] offset:256          // 00000000A1E8: DD348100 0008AD06
	s_mov_b64 exec, s[36:37]                                   // 00000000A1F0: BEFE0124
	v_mov_b32_e32 v6, v70                                      // 00000000A1F4: 7E0C0346
	s_mov_b64 s[60:61], 0                                      // 00000000A1F8: BEBC0180
	v_readlane_b32 s82, v3, 16                                 // 00000000A1FC: D2890052 00012103
	s_and_b32 s82, s82, 0xffffff                               // 00000000A204: 8652FF52 00FFFFFF
	s_cmp_lt_u32 s82, s66                                      // 00000000A20C: BF0A4252
	s_cselect_b32 s20, s36, s60                                // 00000000A210: 85143C24
	v_readlane_b32 s82, v3, 17                                 // 00000000A214: D2890052 00012303
	s_and_b32 s82, s82, 0xffffff                               // 00000000A21C: 8652FF52 00FFFFFF
	s_cmp_lt_u32 s82, s66                                      // 00000000A224: BF0A4252
	s_cselect_b32 s21, s36, s60                                // 00000000A228: 85153C24
	s_mov_b64 exec, s[20:21]                                   // 00000000A22C: BEFE0114
	global_atomic_add_f32 v6, v176, s[8:9]                     // 00000000A230: DD348000 0008B006
	global_atomic_add_f32 v6, v180, s[8:9] offset:256          // 00000000A238: DD348100 0008B406
	s_mov_b64 exec, s[36:37]                                   // 00000000A240: BEFE0124
	v_mov_b32_e32 v6, v71                                      // 00000000A244: 7E0C0347
	s_mov_b64 s[60:61], 0                                      // 00000000A248: BEBC0180
	v_readlane_b32 s82, v3, 18                                 // 00000000A24C: D2890052 00012503
	s_and_b32 s82, s82, 0xffffff                               // 00000000A254: 8652FF52 00FFFFFF
	s_cmp_lt_u32 s82, s66                                      // 00000000A25C: BF0A4252
	s_cselect_b32 s20, s36, s60                                // 00000000A260: 85143C24
	v_readlane_b32 s82, v3, 19                                 // 00000000A264: D2890052 00012703
	s_and_b32 s82, s82, 0xffffff                               // 00000000A26C: 8652FF52 00FFFFFF
	s_cmp_lt_u32 s82, s66                                      // 00000000A274: BF0A4252
	s_cselect_b32 s21, s36, s60                                // 00000000A278: 85153C24
	s_mov_b64 exec, s[20:21]                                   // 00000000A27C: BEFE0114
	global_atomic_add_f32 v6, v177, s[8:9]                     // 00000000A280: DD348000 0008B106
	global_atomic_add_f32 v6, v181, s[8:9] offset:256          // 00000000A288: DD348100 0008B506
	s_mov_b64 exec, s[36:37]                                   // 00000000A290: BEFE0124
	v_mov_b32_e32 v6, v72                                      // 00000000A294: 7E0C0348
	s_mov_b64 s[60:61], 0                                      // 00000000A298: BEBC0180
	v_readlane_b32 s82, v3, 20                                 // 00000000A29C: D2890052 00012903
	s_and_b32 s82, s82, 0xffffff                               // 00000000A2A4: 8652FF52 00FFFFFF
	s_cmp_lt_u32 s82, s66                                      // 00000000A2AC: BF0A4252
	s_cselect_b32 s20, s36, s60                                // 00000000A2B0: 85143C24
	v_readlane_b32 s82, v3, 21                                 // 00000000A2B4: D2890052 00012B03
	s_and_b32 s82, s82, 0xffffff                               // 00000000A2BC: 8652FF52 00FFFFFF
	s_cmp_lt_u32 s82, s66                                      // 00000000A2C4: BF0A4252
	s_cselect_b32 s21, s36, s60                                // 00000000A2C8: 85153C24
	s_mov_b64 exec, s[20:21]                                   // 00000000A2CC: BEFE0114
	global_atomic_add_f32 v6, v184, s[8:9]                     // 00000000A2D0: DD348000 0008B806
	global_atomic_add_f32 v6, v188, s[8:9] offset:256          // 00000000A2D8: DD348100 0008BC06
	s_mov_b64 exec, s[36:37]                                   // 00000000A2E0: BEFE0124
	v_mov_b32_e32 v6, v73                                      // 00000000A2E4: 7E0C0349
	s_mov_b64 s[60:61], 0                                      // 00000000A2E8: BEBC0180
	v_readlane_b32 s82, v3, 22                                 // 00000000A2EC: D2890052 00012D03
	s_and_b32 s82, s82, 0xffffff                               // 00000000A2F4: 8652FF52 00FFFFFF
	s_cmp_lt_u32 s82, s66                                      // 00000000A2FC: BF0A4252
	s_cselect_b32 s20, s36, s60                                // 00000000A300: 85143C24
	v_readlane_b32 s82, v3, 23                                 // 00000000A304: D2890052 00012F03
	s_and_b32 s82, s82, 0xffffff                               // 00000000A30C: 8652FF52 00FFFFFF
	s_cmp_lt_u32 s82, s66                                      // 00000000A314: BF0A4252
	s_cselect_b32 s21, s36, s60                                // 00000000A318: 85153C24
	s_mov_b64 exec, s[20:21]                                   // 00000000A31C: BEFE0114
	global_atomic_add_f32 v6, v185, s[8:9]                     // 00000000A320: DD348000 0008B906
	global_atomic_add_f32 v6, v189, s[8:9] offset:256          // 00000000A328: DD348100 0008BD06
	s_mov_b64 exec, s[36:37]                                   // 00000000A330: BEFE0124
	v_mov_b32_e32 v6, v74                                      // 00000000A334: 7E0C034A
	s_mov_b64 s[60:61], 0                                      // 00000000A338: BEBC0180
	v_readlane_b32 s82, v3, 24                                 // 00000000A33C: D2890052 00013103
	s_and_b32 s82, s82, 0xffffff                               // 00000000A344: 8652FF52 00FFFFFF
	s_cmp_lt_u32 s82, s66                                      // 00000000A34C: BF0A4252
	s_cselect_b32 s20, s36, s60                                // 00000000A350: 85143C24
	v_readlane_b32 s82, v3, 25                                 // 00000000A354: D2890052 00013303
	s_and_b32 s82, s82, 0xffffff                               // 00000000A35C: 8652FF52 00FFFFFF
	s_cmp_lt_u32 s82, s66                                      // 00000000A364: BF0A4252
	s_cselect_b32 s21, s36, s60                                // 00000000A368: 85153C24
	s_mov_b64 exec, s[20:21]                                   // 00000000A36C: BEFE0114
	global_atomic_add_f32 v6, v192, s[8:9]                     // 00000000A370: DD348000 0008C006
	global_atomic_add_f32 v6, v196, s[8:9] offset:256          // 00000000A378: DD348100 0008C406
	s_mov_b64 exec, s[36:37]                                   // 00000000A380: BEFE0124
	v_mov_b32_e32 v6, v75                                      // 00000000A384: 7E0C034B
	s_mov_b64 s[60:61], 0                                      // 00000000A388: BEBC0180
	v_readlane_b32 s82, v3, 26                                 // 00000000A38C: D2890052 00013503
	s_and_b32 s82, s82, 0xffffff                               // 00000000A394: 8652FF52 00FFFFFF
	s_cmp_lt_u32 s82, s66                                      // 00000000A39C: BF0A4252
	s_cselect_b32 s20, s36, s60                                // 00000000A3A0: 85143C24
	v_readlane_b32 s82, v3, 27                                 // 00000000A3A4: D2890052 00013703
	s_and_b32 s82, s82, 0xffffff                               // 00000000A3AC: 8652FF52 00FFFFFF
	s_cmp_lt_u32 s82, s66                                      // 00000000A3B4: BF0A4252
	s_cselect_b32 s21, s36, s60                                // 00000000A3B8: 85153C24
	s_mov_b64 exec, s[20:21]                                   // 00000000A3BC: BEFE0114
	global_atomic_add_f32 v6, v193, s[8:9]                     // 00000000A3C0: DD348000 0008C106
	global_atomic_add_f32 v6, v197, s[8:9] offset:256          // 00000000A3C8: DD348100 0008C506
	s_mov_b64 exec, s[36:37]                                   // 00000000A3D0: BEFE0124
	v_mov_b32_e32 v6, v76                                      // 00000000A3D4: 7E0C034C
	s_mov_b64 s[60:61], 0                                      // 00000000A3D8: BEBC0180
	v_readlane_b32 s82, v3, 28                                 // 00000000A3DC: D2890052 00013903
	s_and_b32 s82, s82, 0xffffff                               // 00000000A3E4: 8652FF52 00FFFFFF
	s_cmp_lt_u32 s82, s66                                      // 00000000A3EC: BF0A4252
	s_cselect_b32 s20, s36, s60                                // 00000000A3F0: 85143C24
	v_readlane_b32 s82, v3, 29                                 // 00000000A3F4: D2890052 00013B03
	s_and_b32 s82, s82, 0xffffff                               // 00000000A3FC: 8652FF52 00FFFFFF
	s_cmp_lt_u32 s82, s66                                      // 00000000A404: BF0A4252
	s_cselect_b32 s21, s36, s60                                // 00000000A408: 85153C24
	s_mov_b64 exec, s[20:21]                                   // 00000000A40C: BEFE0114
	global_atomic_add_f32 v6, v200, s[8:9]                     // 00000000A410: DD348000 0008C806
	global_atomic_add_f32 v6, v204, s[8:9] offset:256          // 00000000A418: DD348100 0008CC06
	s_mov_b64 exec, s[36:37]                                   // 00000000A420: BEFE0124
	v_mov_b32_e32 v6, v77                                      // 00000000A424: 7E0C034D
	s_mov_b64 s[60:61], 0                                      // 00000000A428: BEBC0180
	v_readlane_b32 s82, v3, 30                                 // 00000000A42C: D2890052 00013D03
	s_and_b32 s82, s82, 0xffffff                               // 00000000A434: 8652FF52 00FFFFFF
	s_cmp_lt_u32 s82, s66                                      // 00000000A43C: BF0A4252
	s_cselect_b32 s20, s36, s60                                // 00000000A440: 85143C24
	v_readlane_b32 s82, v3, 31                                 // 00000000A444: D2890052 00013F03
	s_and_b32 s82, s82, 0xffffff                               // 00000000A44C: 8652FF52 00FFFFFF
	s_cmp_lt_u32 s82, s66                                      // 00000000A454: BF0A4252
	s_cselect_b32 s21, s36, s60                                // 00000000A458: 85153C24
	s_mov_b64 exec, s[20:21]                                   // 00000000A45C: BEFE0114
	global_atomic_add_f32 v6, v201, s[8:9]                     // 00000000A460: DD348000 0008C906
	global_atomic_add_f32 v6, v205, s[8:9] offset:256          // 00000000A468: DD348100 0008CD06
	s_mov_b64 exec, s[36:37]                                   // 00000000A470: BEFE0124
	ds_write_b64 v20, v[146:147]                               // 00000000A474: D89A0000 00009214
	ds_write_b64 v20, v[150:151] offset:4352                   // 00000000A47C: D89A1100 00009614
	ds_write_b64 v20, v[154:155] offset:8704                   // 00000000A484: D89A2200 00009A14
	ds_write_b64 v20, v[158:159] offset:13056                  // 00000000A48C: D89A3300 00009E14
	ds_write_b64 v20, v[162:163] offset:17408                  // 00000000A494: D89A4400 0000A214
	ds_write_b64 v20, v[166:167] offset:21760                  // 00000000A49C: D89A5500 0000A614
	ds_write_b64 v20, v[170:171] offset:26112                  // 00000000A4A4: D89A6600 0000AA14
	ds_write_b64 v20, v[174:175] offset:30464                  // 00000000A4AC: D89A7700 0000AE14
	ds_write_b64 v20, v[178:179] offset:2176                   // 00000000A4B4: D89A0880 0000B214
	ds_write_b64 v20, v[182:183] offset:6528                   // 00000000A4BC: D89A1980 0000B614
	ds_write_b64 v20, v[186:187] offset:10880                  // 00000000A4C4: D89A2A80 0000BA14
	ds_write_b64 v20, v[190:191] offset:15232                  // 00000000A4CC: D89A3B80 0000BE14
	ds_write_b64 v20, v[194:195] offset:19584                  // 00000000A4D4: D89A4C80 0000C214
	ds_write_b64 v20, v[198:199] offset:23936                  // 00000000A4DC: D89A5D80 0000C614
	ds_write_b64 v20, v[202:203] offset:28288                  // 00000000A4E4: D89A6E80 0000CA14
	ds_write_b64 v20, v[206:207] offset:32640                  // 00000000A4EC: D89A7F80 0000CE14
	s_waitcnt lgkmcnt(0)                                       // 00000000A4F4: BF8CC07F
	s_barrier                                                  // 00000000A4F8: BF8A0000
	ds_read_b32 v146, v21                                      // 00000000A4FC: D86C0000 92000015
	ds_read_b32 v147, v21 offset:64                            // 00000000A504: D86C0040 93000015
	ds_read_b32 v150, v21 offset:2176                          // 00000000A50C: D86C0880 96000015
	ds_read_b32 v151, v21 offset:2240                          // 00000000A514: D86C08C0 97000015
	ds_read_b32 v154, v21 offset:4352                          // 00000000A51C: D86C1100 9A000015
	ds_read_b32 v155, v21 offset:4416                          // 00000000A524: D86C1140 9B000015
	ds_read_b32 v158, v21 offset:6528                          // 00000000A52C: D86C1980 9E000015
	ds_read_b32 v159, v21 offset:6592                          // 00000000A534: D86C19C0 9F000015
	ds_read_b32 v162, v21 offset:8704                          // 00000000A53C: D86C2200 A2000015
	ds_read_b32 v163, v21 offset:8768                          // 00000000A544: D86C2240 A3000015
	ds_read_b32 v166, v21 offset:10880                         // 00000000A54C: D86C2A80 A6000015
	ds_read_b32 v167, v21 offset:10944                         // 00000000A554: D86C2AC0 A7000015
	ds_read_b32 v170, v21 offset:13056                         // 00000000A55C: D86C3300 AA000015
	ds_read_b32 v171, v21 offset:13120                         // 00000000A564: D86C3340 AB000015
	ds_read_b32 v174, v21 offset:15232                         // 00000000A56C: D86C3B80 AE000015
	ds_read_b32 v175, v21 offset:15296                         // 00000000A574: D86C3BC0 AF000015
	ds_read_b32 v178, v21 offset:17408                         // 00000000A57C: D86C4400 B2000015
	ds_read_b32 v179, v21 offset:17472                         // 00000000A584: D86C4440 B3000015
	ds_read_b32 v182, v21 offset:19584                         // 00000000A58C: D86C4C80 B6000015
	ds_read_b32 v183, v21 offset:19648                         // 00000000A594: D86C4CC0 B7000015
	ds_read_b32 v186, v21 offset:21760                         // 00000000A59C: D86C5500 BA000015
	ds_read_b32 v187, v21 offset:21824                         // 00000000A5A4: D86C5540 BB000015
	ds_read_b32 v190, v21 offset:23936                         // 00000000A5AC: D86C5D80 BE000015
	ds_read_b32 v191, v21 offset:24000                         // 00000000A5B4: D86C5DC0 BF000015
	ds_read_b32 v194, v21 offset:26112                         // 00000000A5BC: D86C6600 C2000015
	ds_read_b32 v195, v21 offset:26176                         // 00000000A5C4: D86C6640 C3000015
	ds_read_b32 v198, v21 offset:28288                         // 00000000A5CC: D86C6E80 C6000015
	ds_read_b32 v199, v21 offset:28352                         // 00000000A5D4: D86C6EC0 C7000015
	ds_read_b32 v202, v21 offset:30464                         // 00000000A5DC: D86C7700 CA000015
	ds_read_b32 v203, v21 offset:30528                         // 00000000A5E4: D86C7740 CB000015
	ds_read_b32 v206, v21 offset:32640                         // 00000000A5EC: D86C7F80 CE000015
	ds_read_b32 v207, v21 offset:32704                         // 00000000A5F4: D86C7FC0 CF000015
	s_waitcnt lgkmcnt(0)                                       // 00000000A5FC: BF8CC07F
	v_mov_b32_e32 v7, 0                                        // 00000000A600: 7E0E0280
	s_mov_b64 exec, s[36:37]                                   // 00000000A604: BEFE0124
	v_mov_b32_e32 v6, v62                                      // 00000000A608: 7E0C033E
	s_mov_b64 s[60:61], 0                                      // 00000000A60C: BEBC0180
	v_readlane_b32 s82, v3, 0                                  // 00000000A610: D2890052 00010103
	s_and_b32 s82, s82, 0xffffff                               // 00000000A618: 8652FF52 00FFFFFF
	s_cmp_lt_u32 s82, s66                                      // 00000000A620: BF0A4252
	s_cselect_b32 s20, s36, s60                                // 00000000A624: 85143C24
	v_readlane_b32 s82, v3, 1                                  // 00000000A628: D2890052 00010303
	s_and_b32 s82, s82, 0xffffff                               // 00000000A630: 8652FF52 00FFFFFF
	s_cmp_lt_u32 s82, s66                                      // 00000000A638: BF0A4252
	s_cselect_b32 s21, s36, s60                                // 00000000A63C: 85153C24
	s_mov_b64 exec, s[20:21]                                   // 00000000A640: BEFE0114
	global_atomic_add_f32 v6, v146, s[8:9] offset:8            // 00000000A644: DD348008 00089206
	global_atomic_add_f32 v6, v150, s[8:9] offset:264          // 00000000A64C: DD348108 00089606
	s_mov_b64 exec, s[36:37]                                   // 00000000A654: BEFE0124
	v_mov_b32_e32 v6, v63                                      // 00000000A658: 7E0C033F
	s_mov_b64 s[60:61], 0                                      // 00000000A65C: BEBC0180
	v_readlane_b32 s82, v3, 2                                  // 00000000A660: D2890052 00010503
	s_and_b32 s82, s82, 0xffffff                               // 00000000A668: 8652FF52 00FFFFFF
	s_cmp_lt_u32 s82, s66                                      // 00000000A670: BF0A4252
	s_cselect_b32 s20, s36, s60                                // 00000000A674: 85143C24
	v_readlane_b32 s82, v3, 3                                  // 00000000A678: D2890052 00010703
	s_and_b32 s82, s82, 0xffffff                               // 00000000A680: 8652FF52 00FFFFFF
	s_cmp_lt_u32 s82, s66                                      // 00000000A688: BF0A4252
	s_cselect_b32 s21, s36, s60                                // 00000000A68C: 85153C24
	s_mov_b64 exec, s[20:21]                                   // 00000000A690: BEFE0114
	global_atomic_add_f32 v6, v147, s[8:9] offset:8            // 00000000A694: DD348008 00089306
	global_atomic_add_f32 v6, v151, s[8:9] offset:264          // 00000000A69C: DD348108 00089706
	s_mov_b64 exec, s[36:37]                                   // 00000000A6A4: BEFE0124
	v_mov_b32_e32 v6, v64                                      // 00000000A6A8: 7E0C0340
	s_mov_b64 s[60:61], 0                                      // 00000000A6AC: BEBC0180
	v_readlane_b32 s82, v3, 4                                  // 00000000A6B0: D2890052 00010903
	s_and_b32 s82, s82, 0xffffff                               // 00000000A6B8: 8652FF52 00FFFFFF
	s_cmp_lt_u32 s82, s66                                      // 00000000A6C0: BF0A4252
	s_cselect_b32 s20, s36, s60                                // 00000000A6C4: 85143C24
	v_readlane_b32 s82, v3, 5                                  // 00000000A6C8: D2890052 00010B03
	s_and_b32 s82, s82, 0xffffff                               // 00000000A6D0: 8652FF52 00FFFFFF
	s_cmp_lt_u32 s82, s66                                      // 00000000A6D8: BF0A4252
	s_cselect_b32 s21, s36, s60                                // 00000000A6DC: 85153C24
	s_mov_b64 exec, s[20:21]                                   // 00000000A6E0: BEFE0114
	global_atomic_add_f32 v6, v154, s[8:9] offset:8            // 00000000A6E4: DD348008 00089A06
	global_atomic_add_f32 v6, v158, s[8:9] offset:264          // 00000000A6EC: DD348108 00089E06
	s_mov_b64 exec, s[36:37]                                   // 00000000A6F4: BEFE0124
	v_mov_b32_e32 v6, v65                                      // 00000000A6F8: 7E0C0341
	s_mov_b64 s[60:61], 0                                      // 00000000A6FC: BEBC0180
	v_readlane_b32 s82, v3, 6                                  // 00000000A700: D2890052 00010D03
	s_and_b32 s82, s82, 0xffffff                               // 00000000A708: 8652FF52 00FFFFFF
	s_cmp_lt_u32 s82, s66                                      // 00000000A710: BF0A4252
	s_cselect_b32 s20, s36, s60                                // 00000000A714: 85143C24
	v_readlane_b32 s82, v3, 7                                  // 00000000A718: D2890052 00010F03
	s_and_b32 s82, s82, 0xffffff                               // 00000000A720: 8652FF52 00FFFFFF
	s_cmp_lt_u32 s82, s66                                      // 00000000A728: BF0A4252
	s_cselect_b32 s21, s36, s60                                // 00000000A72C: 85153C24
	s_mov_b64 exec, s[20:21]                                   // 00000000A730: BEFE0114
	global_atomic_add_f32 v6, v155, s[8:9] offset:8            // 00000000A734: DD348008 00089B06
	global_atomic_add_f32 v6, v159, s[8:9] offset:264          // 00000000A73C: DD348108 00089F06
	s_mov_b64 exec, s[36:37]                                   // 00000000A744: BEFE0124
	v_mov_b32_e32 v6, v66                                      // 00000000A748: 7E0C0342
	s_mov_b64 s[60:61], 0                                      // 00000000A74C: BEBC0180
	v_readlane_b32 s82, v3, 8                                  // 00000000A750: D2890052 00011103
	s_and_b32 s82, s82, 0xffffff                               // 00000000A758: 8652FF52 00FFFFFF
	s_cmp_lt_u32 s82, s66                                      // 00000000A760: BF0A4252
	s_cselect_b32 s20, s36, s60                                // 00000000A764: 85143C24
	v_readlane_b32 s82, v3, 9                                  // 00000000A768: D2890052 00011303
	s_and_b32 s82, s82, 0xffffff                               // 00000000A770: 8652FF52 00FFFFFF
	s_cmp_lt_u32 s82, s66                                      // 00000000A778: BF0A4252
	s_cselect_b32 s21, s36, s60                                // 00000000A77C: 85153C24
	s_mov_b64 exec, s[20:21]                                   // 00000000A780: BEFE0114
	global_atomic_add_f32 v6, v162, s[8:9] offset:8            // 00000000A784: DD348008 0008A206
	global_atomic_add_f32 v6, v166, s[8:9] offset:264          // 00000000A78C: DD348108 0008A606
	s_mov_b64 exec, s[36:37]                                   // 00000000A794: BEFE0124
	v_mov_b32_e32 v6, v67                                      // 00000000A798: 7E0C0343
	s_mov_b64 s[60:61], 0                                      // 00000000A79C: BEBC0180
	v_readlane_b32 s82, v3, 10                                 // 00000000A7A0: D2890052 00011503
	s_and_b32 s82, s82, 0xffffff                               // 00000000A7A8: 8652FF52 00FFFFFF
	s_cmp_lt_u32 s82, s66                                      // 00000000A7B0: BF0A4252
	s_cselect_b32 s20, s36, s60                                // 00000000A7B4: 85143C24
	v_readlane_b32 s82, v3, 11                                 // 00000000A7B8: D2890052 00011703
	s_and_b32 s82, s82, 0xffffff                               // 00000000A7C0: 8652FF52 00FFFFFF
	s_cmp_lt_u32 s82, s66                                      // 00000000A7C8: BF0A4252
	s_cselect_b32 s21, s36, s60                                // 00000000A7CC: 85153C24
	s_mov_b64 exec, s[20:21]                                   // 00000000A7D0: BEFE0114
	global_atomic_add_f32 v6, v163, s[8:9] offset:8            // 00000000A7D4: DD348008 0008A306
	global_atomic_add_f32 v6, v167, s[8:9] offset:264          // 00000000A7DC: DD348108 0008A706
	s_mov_b64 exec, s[36:37]                                   // 00000000A7E4: BEFE0124
	v_mov_b32_e32 v6, v68                                      // 00000000A7E8: 7E0C0344
	s_mov_b64 s[60:61], 0                                      // 00000000A7EC: BEBC0180
	v_readlane_b32 s82, v3, 12                                 // 00000000A7F0: D2890052 00011903
	s_and_b32 s82, s82, 0xffffff                               // 00000000A7F8: 8652FF52 00FFFFFF
	s_cmp_lt_u32 s82, s66                                      // 00000000A800: BF0A4252
	s_cselect_b32 s20, s36, s60                                // 00000000A804: 85143C24
	v_readlane_b32 s82, v3, 13                                 // 00000000A808: D2890052 00011B03
	s_and_b32 s82, s82, 0xffffff                               // 00000000A810: 8652FF52 00FFFFFF
	s_cmp_lt_u32 s82, s66                                      // 00000000A818: BF0A4252
	s_cselect_b32 s21, s36, s60                                // 00000000A81C: 85153C24
	s_mov_b64 exec, s[20:21]                                   // 00000000A820: BEFE0114
	global_atomic_add_f32 v6, v170, s[8:9] offset:8            // 00000000A824: DD348008 0008AA06
	global_atomic_add_f32 v6, v174, s[8:9] offset:264          // 00000000A82C: DD348108 0008AE06
	s_mov_b64 exec, s[36:37]                                   // 00000000A834: BEFE0124
	v_mov_b32_e32 v6, v69                                      // 00000000A838: 7E0C0345
	s_mov_b64 s[60:61], 0                                      // 00000000A83C: BEBC0180
	v_readlane_b32 s82, v3, 14                                 // 00000000A840: D2890052 00011D03
	s_and_b32 s82, s82, 0xffffff                               // 00000000A848: 8652FF52 00FFFFFF
	s_cmp_lt_u32 s82, s66                                      // 00000000A850: BF0A4252
	s_cselect_b32 s20, s36, s60                                // 00000000A854: 85143C24
	v_readlane_b32 s82, v3, 15                                 // 00000000A858: D2890052 00011F03
	s_and_b32 s82, s82, 0xffffff                               // 00000000A860: 8652FF52 00FFFFFF
	s_cmp_lt_u32 s82, s66                                      // 00000000A868: BF0A4252
	s_cselect_b32 s21, s36, s60                                // 00000000A86C: 85153C24
	s_mov_b64 exec, s[20:21]                                   // 00000000A870: BEFE0114
	global_atomic_add_f32 v6, v171, s[8:9] offset:8            // 00000000A874: DD348008 0008AB06
	global_atomic_add_f32 v6, v175, s[8:9] offset:264          // 00000000A87C: DD348108 0008AF06
	s_mov_b64 exec, s[36:37]                                   // 00000000A884: BEFE0124
	v_mov_b32_e32 v6, v70                                      // 00000000A888: 7E0C0346
	s_mov_b64 s[60:61], 0                                      // 00000000A88C: BEBC0180
	v_readlane_b32 s82, v3, 16                                 // 00000000A890: D2890052 00012103
	s_and_b32 s82, s82, 0xffffff                               // 00000000A898: 8652FF52 00FFFFFF
	s_cmp_lt_u32 s82, s66                                      // 00000000A8A0: BF0A4252
	s_cselect_b32 s20, s36, s60                                // 00000000A8A4: 85143C24
	v_readlane_b32 s82, v3, 17                                 // 00000000A8A8: D2890052 00012303
	s_and_b32 s82, s82, 0xffffff                               // 00000000A8B0: 8652FF52 00FFFFFF
	s_cmp_lt_u32 s82, s66                                      // 00000000A8B8: BF0A4252
	s_cselect_b32 s21, s36, s60                                // 00000000A8BC: 85153C24
	s_mov_b64 exec, s[20:21]                                   // 00000000A8C0: BEFE0114
	global_atomic_add_f32 v6, v178, s[8:9] offset:8            // 00000000A8C4: DD348008 0008B206
	global_atomic_add_f32 v6, v182, s[8:9] offset:264          // 00000000A8CC: DD348108 0008B606
	s_mov_b64 exec, s[36:37]                                   // 00000000A8D4: BEFE0124
	v_mov_b32_e32 v6, v71                                      // 00000000A8D8: 7E0C0347
	s_mov_b64 s[60:61], 0                                      // 00000000A8DC: BEBC0180
	v_readlane_b32 s82, v3, 18                                 // 00000000A8E0: D2890052 00012503
	s_and_b32 s82, s82, 0xffffff                               // 00000000A8E8: 8652FF52 00FFFFFF
	s_cmp_lt_u32 s82, s66                                      // 00000000A8F0: BF0A4252
	s_cselect_b32 s20, s36, s60                                // 00000000A8F4: 85143C24
	v_readlane_b32 s82, v3, 19                                 // 00000000A8F8: D2890052 00012703
	s_and_b32 s82, s82, 0xffffff                               // 00000000A900: 8652FF52 00FFFFFF
	s_cmp_lt_u32 s82, s66                                      // 00000000A908: BF0A4252
	s_cselect_b32 s21, s36, s60                                // 00000000A90C: 85153C24
	s_mov_b64 exec, s[20:21]                                   // 00000000A910: BEFE0114
	global_atomic_add_f32 v6, v179, s[8:9] offset:8            // 00000000A914: DD348008 0008B306
	global_atomic_add_f32 v6, v183, s[8:9] offset:264          // 00000000A91C: DD348108 0008B706
	s_mov_b64 exec, s[36:37]                                   // 00000000A924: BEFE0124
	v_mov_b32_e32 v6, v72                                      // 00000000A928: 7E0C0348
	s_mov_b64 s[60:61], 0                                      // 00000000A92C: BEBC0180
	v_readlane_b32 s82, v3, 20                                 // 00000000A930: D2890052 00012903
	s_and_b32 s82, s82, 0xffffff                               // 00000000A938: 8652FF52 00FFFFFF
	s_cmp_lt_u32 s82, s66                                      // 00000000A940: BF0A4252
	s_cselect_b32 s20, s36, s60                                // 00000000A944: 85143C24
	v_readlane_b32 s82, v3, 21                                 // 00000000A948: D2890052 00012B03
	s_and_b32 s82, s82, 0xffffff                               // 00000000A950: 8652FF52 00FFFFFF
	s_cmp_lt_u32 s82, s66                                      // 00000000A958: BF0A4252
	s_cselect_b32 s21, s36, s60                                // 00000000A95C: 85153C24
	s_mov_b64 exec, s[20:21]                                   // 00000000A960: BEFE0114
	global_atomic_add_f32 v6, v186, s[8:9] offset:8            // 00000000A964: DD348008 0008BA06
	global_atomic_add_f32 v6, v190, s[8:9] offset:264          // 00000000A96C: DD348108 0008BE06
	s_mov_b64 exec, s[36:37]                                   // 00000000A974: BEFE0124
	v_mov_b32_e32 v6, v73                                      // 00000000A978: 7E0C0349
	s_mov_b64 s[60:61], 0                                      // 00000000A97C: BEBC0180
	v_readlane_b32 s82, v3, 22                                 // 00000000A980: D2890052 00012D03
	s_and_b32 s82, s82, 0xffffff                               // 00000000A988: 8652FF52 00FFFFFF
	s_cmp_lt_u32 s82, s66                                      // 00000000A990: BF0A4252
	s_cselect_b32 s20, s36, s60                                // 00000000A994: 85143C24
	v_readlane_b32 s82, v3, 23                                 // 00000000A998: D2890052 00012F03
	s_and_b32 s82, s82, 0xffffff                               // 00000000A9A0: 8652FF52 00FFFFFF
	s_cmp_lt_u32 s82, s66                                      // 00000000A9A8: BF0A4252
	s_cselect_b32 s21, s36, s60                                // 00000000A9AC: 85153C24
	s_mov_b64 exec, s[20:21]                                   // 00000000A9B0: BEFE0114
	global_atomic_add_f32 v6, v187, s[8:9] offset:8            // 00000000A9B4: DD348008 0008BB06
	global_atomic_add_f32 v6, v191, s[8:9] offset:264          // 00000000A9BC: DD348108 0008BF06
	s_mov_b64 exec, s[36:37]                                   // 00000000A9C4: BEFE0124
	v_mov_b32_e32 v6, v74                                      // 00000000A9C8: 7E0C034A
	s_mov_b64 s[60:61], 0                                      // 00000000A9CC: BEBC0180
	v_readlane_b32 s82, v3, 24                                 // 00000000A9D0: D2890052 00013103
	s_and_b32 s82, s82, 0xffffff                               // 00000000A9D8: 8652FF52 00FFFFFF
	s_cmp_lt_u32 s82, s66                                      // 00000000A9E0: BF0A4252
	s_cselect_b32 s20, s36, s60                                // 00000000A9E4: 85143C24
	v_readlane_b32 s82, v3, 25                                 // 00000000A9E8: D2890052 00013303
	s_and_b32 s82, s82, 0xffffff                               // 00000000A9F0: 8652FF52 00FFFFFF
	s_cmp_lt_u32 s82, s66                                      // 00000000A9F8: BF0A4252
	s_cselect_b32 s21, s36, s60                                // 00000000A9FC: 85153C24
	s_mov_b64 exec, s[20:21]                                   // 00000000AA00: BEFE0114
	global_atomic_add_f32 v6, v194, s[8:9] offset:8            // 00000000AA04: DD348008 0008C206
	global_atomic_add_f32 v6, v198, s[8:9] offset:264          // 00000000AA0C: DD348108 0008C606
	s_mov_b64 exec, s[36:37]                                   // 00000000AA14: BEFE0124
	v_mov_b32_e32 v6, v75                                      // 00000000AA18: 7E0C034B
	s_mov_b64 s[60:61], 0                                      // 00000000AA1C: BEBC0180
	v_readlane_b32 s82, v3, 26                                 // 00000000AA20: D2890052 00013503
	s_and_b32 s82, s82, 0xffffff                               // 00000000AA28: 8652FF52 00FFFFFF
	s_cmp_lt_u32 s82, s66                                      // 00000000AA30: BF0A4252
	s_cselect_b32 s20, s36, s60                                // 00000000AA34: 85143C24
	v_readlane_b32 s82, v3, 27                                 // 00000000AA38: D2890052 00013703
	s_and_b32 s82, s82, 0xffffff                               // 00000000AA40: 8652FF52 00FFFFFF
	s_cmp_lt_u32 s82, s66                                      // 00000000AA48: BF0A4252
	s_cselect_b32 s21, s36, s60                                // 00000000AA4C: 85153C24
	s_mov_b64 exec, s[20:21]                                   // 00000000AA50: BEFE0114
	global_atomic_add_f32 v6, v195, s[8:9] offset:8            // 00000000AA54: DD348008 0008C306
	global_atomic_add_f32 v6, v199, s[8:9] offset:264          // 00000000AA5C: DD348108 0008C706
	s_mov_b64 exec, s[36:37]                                   // 00000000AA64: BEFE0124
	v_mov_b32_e32 v6, v76                                      // 00000000AA68: 7E0C034C
	s_mov_b64 s[60:61], 0                                      // 00000000AA6C: BEBC0180
	v_readlane_b32 s82, v3, 28                                 // 00000000AA70: D2890052 00013903
	s_and_b32 s82, s82, 0xffffff                               // 00000000AA78: 8652FF52 00FFFFFF
	s_cmp_lt_u32 s82, s66                                      // 00000000AA80: BF0A4252
	s_cselect_b32 s20, s36, s60                                // 00000000AA84: 85143C24
	v_readlane_b32 s82, v3, 29                                 // 00000000AA88: D2890052 00013B03
	s_and_b32 s82, s82, 0xffffff                               // 00000000AA90: 8652FF52 00FFFFFF
	s_cmp_lt_u32 s82, s66                                      // 00000000AA98: BF0A4252
	s_cselect_b32 s21, s36, s60                                // 00000000AA9C: 85153C24
	s_mov_b64 exec, s[20:21]                                   // 00000000AAA0: BEFE0114
	global_atomic_add_f32 v6, v202, s[8:9] offset:8            // 00000000AAA4: DD348008 0008CA06
	global_atomic_add_f32 v6, v206, s[8:9] offset:264          // 00000000AAAC: DD348108 0008CE06
	s_mov_b64 exec, s[36:37]                                   // 00000000AAB4: BEFE0124
	v_mov_b32_e32 v6, v77                                      // 00000000AAB8: 7E0C034D
	s_mov_b64 s[60:61], 0                                      // 00000000AABC: BEBC0180
	v_readlane_b32 s82, v3, 30                                 // 00000000AAC0: D2890052 00013D03
	s_and_b32 s82, s82, 0xffffff                               // 00000000AAC8: 8652FF52 00FFFFFF
	s_cmp_lt_u32 s82, s66                                      // 00000000AAD0: BF0A4252
	s_cselect_b32 s20, s36, s60                                // 00000000AAD4: 85143C24
	v_readlane_b32 s82, v3, 31                                 // 00000000AAD8: D2890052 00013F03
	s_and_b32 s82, s82, 0xffffff                               // 00000000AAE0: 8652FF52 00FFFFFF
	s_cmp_lt_u32 s82, s66                                      // 00000000AAE8: BF0A4252
	s_cselect_b32 s21, s36, s60                                // 00000000AAEC: 85153C24
	s_mov_b64 exec, s[20:21]                                   // 00000000AAF0: BEFE0114
	global_atomic_add_f32 v6, v203, s[8:9] offset:8            // 00000000AAF4: DD348008 0008CB06
	global_atomic_add_f32 v6, v207, s[8:9] offset:264          // 00000000AAFC: DD348108 0008CF06
	s_mov_b64 exec, s[36:37]                                   // 00000000AB04: BEFE0124
	s_branch label_3CEE                                        // 00000000AB08: BF821CA8

000000000000ab0c <label_2046>:
	s_waitcnt vmcnt(20) lgkmcnt(0)                             // 00000000AB0C: BF8C4074
	v_mfma_i32_16x16x32_i8 v[80:83], a[128:129], a[0:1], v[80:83]// 00000000AB10: D3D70050 1D420180
	buffer_load_dwordx4 a[160:163], v78, s[24:27], 0 offen     // 00000000AB18: E05C1000 8086A04E
	v_mfma_i32_16x16x32_i8 v[80:83], a[130:131], a[2:3], v[80:83]// 00000000AB20: D3D70050 1D420582
	v_mfma_i32_16x16x32_i8 v[80:83], a[132:133], a[4:5], v[80:83]// 00000000AB28: D3D70050 1D420984
	v_mfma_i32_16x16x32_i8 v[80:83], a[134:135], a[6:7], v[80:83]// 00000000AB30: D3D70050 1D420D86
	v_mfma_i32_16x16x32_i8 v[112:115], a[136:137], a[0:1], v[112:115]// 00000000AB38: D3D70070 1DC20188
	buffer_load_dwordx4 a[164:167], v78, s[24:27], 0 offen offset:1024// 00000000AB40: E05C1400 8086A44E
	v_mfma_i32_16x16x32_i8 v[112:115], a[138:139], a[2:3], v[112:115]// 00000000AB48: D3D70070 1DC2058A
	v_mfma_i32_16x16x32_i8 v[112:115], a[140:141], a[4:5], v[112:115]// 00000000AB50: D3D70070 1DC2098C
	v_mfma_i32_16x16x32_i8 v[112:115], a[142:143], a[6:7], v[112:115]// 00000000AB58: D3D70070 1DC20D8E
	v_mfma_i32_16x16x32_i8 v[84:87], a[128:129], a[8:9], v[84:87]// 00000000AB60: D3D70054 1D521180
	buffer_load_dwordx4 a[168:171], v79, s[24:27], 0 offen     // 00000000AB68: E05C1000 8086A84F
	v_mfma_i32_16x16x32_i8 v[84:87], a[130:131], a[10:11], v[84:87]// 00000000AB70: D3D70054 1D521582
	v_mfma_i32_16x16x32_i8 v[84:87], a[132:133], a[12:13], v[84:87]// 00000000AB78: D3D70054 1D521984
	v_mfma_i32_16x16x32_i8 v[84:87], a[134:135], a[14:15], v[84:87]// 00000000AB80: D3D70054 1D521D86
	v_mfma_i32_16x16x32_i8 v[116:119], a[136:137], a[8:9], v[116:119]// 00000000AB88: D3D70074 1DD21188
	buffer_load_dwordx4 a[172:175], v79, s[24:27], 0 offen offset:1024// 00000000AB90: E05C1400 8086AC4F
	buffer_load_dword v62, s[20:23], 0 offen lds               // 00000000AB98: E0511000 8005003E
	s_add_u32 m0, 0x100, s50                                   // 00000000ABA0: 807C32FF 00000100
	v_mfma_i32_16x16x32_i8 v[116:119], a[138:139], a[10:11], v[116:119]// 00000000ABA8: D3D70074 1DD2158A
	v_mfma_i32_16x16x32_i8 v[116:119], a[140:141], a[12:13], v[116:119]// 00000000ABB0: D3D70074 1DD2198C
	buffer_load_dword v63, s[20:23], 0 offen lds               // 00000000ABB8: E0511000 8005003F
	s_add_u32 m0, 0x200, s50                                   // 00000000ABC0: 807C32FF 00000200
	v_mfma_i32_16x16x32_i8 v[116:119], a[142:143], a[14:15], v[116:119]// 00000000ABC8: D3D70074 1DD21D8E
	v_mfma_i32_16x16x32_i8 v[88:91], a[128:129], a[16:17], v[88:91]// 00000000ABD0: D3D70058 1D622180
	buffer_load_dword v64, s[20:23], 0 offen lds               // 00000000ABD8: E0511000 80050040
	s_add_u32 m0, 0x300, s50                                   // 00000000ABE0: 807C32FF 00000300
	v_mfma_i32_16x16x32_i8 v[88:91], a[130:131], a[18:19], v[88:91]// 00000000ABE8: D3D70058 1D622582
	v_mfma_i32_16x16x32_i8 v[88:91], a[132:133], a[20:21], v[88:91]// 00000000ABF0: D3D70058 1D622984
	buffer_load_dword v65, s[20:23], 0 offen lds               // 00000000ABF8: E0511000 80050041
	s_add_u32 m0, 0x400, s50                                   // 00000000AC00: 807C32FF 00000400
	v_mfma_i32_16x16x32_i8 v[88:91], a[134:135], a[22:23], v[88:91]// 00000000AC08: D3D70058 1D622D86
	v_mfma_i32_16x16x32_i8 v[120:123], a[136:137], a[16:17], v[120:123]// 00000000AC10: D3D70078 1DE22188
	buffer_load_dword v66, s[20:23], 0 offen lds               // 00000000AC18: E0511000 80050042
	s_add_u32 m0, 0x500, s50                                   // 00000000AC20: 807C32FF 00000500
	v_mfma_i32_16x16x32_i8 v[120:123], a[138:139], a[18:19], v[120:123]// 00000000AC28: D3D70078 1DE2258A
	v_mfma_i32_16x16x32_i8 v[120:123], a[140:141], a[20:21], v[120:123]// 00000000AC30: D3D70078 1DE2298C
	buffer_load_dword v67, s[20:23], 0 offen lds               // 00000000AC38: E0511000 80050043
	s_add_u32 m0, 0x600, s50                                   // 00000000AC40: 807C32FF 00000600
	v_mfma_i32_16x16x32_i8 v[120:123], a[142:143], a[22:23], v[120:123]// 00000000AC48: D3D70078 1DE22D8E
	v_mfma_i32_16x16x32_i8 v[92:95], a[128:129], a[24:25], v[92:95]// 00000000AC50: D3D7005C 1D723180
	buffer_load_dword v68, s[20:23], 0 offen lds               // 00000000AC58: E0511000 80050044
	s_add_u32 m0, 0x700, s50                                   // 00000000AC60: 807C32FF 00000700
	v_mfma_i32_16x16x32_i8 v[92:95], a[130:131], a[26:27], v[92:95]// 00000000AC68: D3D7005C 1D723582
	v_mfma_i32_16x16x32_i8 v[92:95], a[132:133], a[28:29], v[92:95]// 00000000AC70: D3D7005C 1D723984
	buffer_load_dword v69, s[20:23], 0 offen lds               // 00000000AC78: E0511000 80050045
	s_add_u32 m0, 0x800, s50                                   // 00000000AC80: 807C32FF 00000800
	v_mfma_i32_16x16x32_i8 v[92:95], a[134:135], a[30:31], v[92:95]// 00000000AC88: D3D7005C 1D723D86
	v_mfma_i32_16x16x32_i8 v[124:127], a[136:137], a[24:25], v[124:127]// 00000000AC90: D3D7007C 1DF23188
	buffer_load_dword v70, s[20:23], 0 offen lds               // 00000000AC98: E0511000 80050046
	s_add_u32 m0, 0x900, s50                                   // 00000000ACA0: 807C32FF 00000900
	v_mfma_i32_16x16x32_i8 v[124:127], a[138:139], a[26:27], v[124:127]// 00000000ACA8: D3D7007C 1DF2358A
	v_mfma_i32_16x16x32_i8 v[124:127], a[140:141], a[28:29], v[124:127]// 00000000ACB0: D3D7007C 1DF2398C
	buffer_load_dword v71, s[20:23], 0 offen lds               // 00000000ACB8: E0511000 80050047
	s_add_u32 m0, 0xa00, s50                                   // 00000000ACC0: 807C32FF 00000A00
	v_mfma_i32_16x16x32_i8 v[124:127], a[142:143], a[30:31], v[124:127]// 00000000ACC8: D3D7007C 1DF23D8E
	v_mfma_i32_16x16x32_i8 v[96:99], a[128:129], a[32:33], v[96:99]// 00000000ACD0: D3D70060 1D824180
	v_mfma_i32_16x16x32_i8 v[96:99], a[130:131], a[34:35], v[96:99]// 00000000ACD8: D3D70060 1D824582
	v_mfma_i32_16x16x32_i8 v[96:99], a[132:133], a[36:37], v[96:99]// 00000000ACE0: D3D70060 1D824984
	v_mfma_i32_16x16x32_i8 v[96:99], a[134:135], a[38:39], v[96:99]// 00000000ACE8: D3D70060 1D824D86
	v_mfma_i32_16x16x32_i8 v[128:131], a[136:137], a[32:33], v[128:131]// 00000000ACF0: D3D70080 1E024188
	v_mfma_i32_16x16x32_i8 v[128:131], a[138:139], a[34:35], v[128:131]// 00000000ACF8: D3D70080 1E02458A
	v_mfma_i32_16x16x32_i8 v[128:131], a[140:141], a[36:37], v[128:131]// 00000000AD00: D3D70080 1E02498C
	v_mfma_i32_16x16x32_i8 v[128:131], a[142:143], a[38:39], v[128:131]// 00000000AD08: D3D70080 1E024D8E
	v_mfma_i32_16x16x32_i8 v[100:103], a[128:129], a[40:41], v[100:103]// 00000000AD10: D3D70064 1D925180
	buffer_load_dword v72, s[20:23], 0 offen lds               // 00000000AD18: E0511000 80050048
	s_add_u32 m0, 0xb00, s50                                   // 00000000AD20: 807C32FF 00000B00
	v_mfma_i32_16x16x32_i8 v[100:103], a[130:131], a[42:43], v[100:103]// 00000000AD28: D3D70064 1D925582
	v_mfma_i32_16x16x32_i8 v[100:103], a[132:133], a[44:45], v[100:103]// 00000000AD30: D3D70064 1D925984
	buffer_load_dword v73, s[20:23], 0 offen lds               // 00000000AD38: E0511000 80050049
	s_add_u32 m0, 0xc00, s50                                   // 00000000AD40: 807C32FF 00000C00
	v_mfma_i32_16x16x32_i8 v[100:103], a[134:135], a[46:47], v[100:103]// 00000000AD48: D3D70064 1D925D86
	v_mfma_i32_16x16x32_i8 v[132:135], a[136:137], a[40:41], v[132:135]// 00000000AD50: D3D70084 1E125188
	buffer_load_dword v74, s[20:23], 0 offen lds               // 00000000AD58: E0511000 8005004A
	s_add_u32 m0, 0xd00, s50                                   // 00000000AD60: 807C32FF 00000D00
	v_mfma_i32_16x16x32_i8 v[132:135], a[138:139], a[42:43], v[132:135]// 00000000AD68: D3D70084 1E12558A
	v_mfma_i32_16x16x32_i8 v[132:135], a[140:141], a[44:45], v[132:135]// 00000000AD70: D3D70084 1E12598C
	buffer_load_dword v75, s[20:23], 0 offen lds               // 00000000AD78: E0511000 8005004B
	s_add_u32 m0, 0xe00, s50                                   // 00000000AD80: 807C32FF 00000E00
	v_mfma_i32_16x16x32_i8 v[132:135], a[142:143], a[46:47], v[132:135]// 00000000AD88: D3D70084 1E125D8E
	v_mfma_i32_16x16x32_i8 v[104:107], a[128:129], a[48:49], v[104:107]// 00000000AD90: D3D70068 1DA26180
	v_mfma_i32_16x16x32_i8 v[104:107], a[130:131], a[50:51], v[104:107]// 00000000AD98: D3D70068 1DA26582
	v_mfma_i32_16x16x32_i8 v[104:107], a[132:133], a[52:53], v[104:107]// 00000000ADA0: D3D70068 1DA26984
	v_mfma_i32_16x16x32_i8 v[104:107], a[134:135], a[54:55], v[104:107]// 00000000ADA8: D3D70068 1DA26D86
	v_mfma_i32_16x16x32_i8 v[136:139], a[136:137], a[48:49], v[136:139]// 00000000ADB0: D3D70088 1E226188
	v_mfma_i32_16x16x32_i8 v[136:139], a[138:139], a[50:51], v[136:139]// 00000000ADB8: D3D70088 1E22658A
	v_mfma_i32_16x16x32_i8 v[136:139], a[140:141], a[52:53], v[136:139]// 00000000ADC0: D3D70088 1E22698C
	v_mfma_i32_16x16x32_i8 v[136:139], a[142:143], a[54:55], v[136:139]// 00000000ADC8: D3D70088 1E226D8E
	v_mfma_i32_16x16x32_i8 v[108:111], a[128:129], a[56:57], v[108:111]// 00000000ADD0: D3D7006C 1DB27180
	buffer_load_dword v76, s[20:23], 0 offen lds               // 00000000ADD8: E0511000 8005004C
	s_add_u32 m0, 0xf00, s50                                   // 00000000ADE0: 807C32FF 00000F00
	v_mfma_i32_16x16x32_i8 v[108:111], a[130:131], a[58:59], v[108:111]// 00000000ADE8: D3D7006C 1DB27582
	v_mfma_i32_16x16x32_i8 v[108:111], a[132:133], a[60:61], v[108:111]// 00000000ADF0: D3D7006C 1DB27984
	buffer_load_dword v77, s[20:23], 0 offen lds               // 00000000ADF8: E0511000 8005004D
	s_add_u32 m0, 0, s48                                       // 00000000AE00: 807C3080
	v_mfma_i32_16x16x32_i8 v[108:111], a[134:135], a[62:63], v[108:111]// 00000000AE04: D3D7006C 1DB27D86
	v_mfma_i32_16x16x32_i8 v[140:143], a[136:137], a[56:57], v[140:143]// 00000000AE0C: D3D7008C 1E327188
	v_mfma_i32_16x16x32_i8 v[140:143], a[138:139], a[58:59], v[140:143]// 00000000AE14: D3D7008C 1E32758A
	v_mfma_i32_16x16x32_i8 v[140:143], a[140:141], a[60:61], v[140:143]// 00000000AE1C: D3D7008C 1E32798C
	v_mfma_i32_16x16x32_i8 v[140:143], a[142:143], a[62:63], v[140:143]// 00000000AE24: D3D7008C 1E327D8E
	s_waitcnt vmcnt(20)                                        // 00000000AE2C: BF8C4F74
	s_barrier                                                  // 00000000AE30: BF8A0000
	v_mfma_i32_16x16x32_i8 v[144:147], a[144:145], a[0:1], v[144:147]// 00000000AE34: D3D70090 1E420190
	buffer_load_dwordx4 a[128:131], v78, s[84:87], 0 offen     // 00000000AE3C: E05C1000 8095804E
	v_mfma_i32_16x16x32_i8 v[144:147], a[146:147], a[2:3], v[144:147]// 00000000AE44: D3D70090 1E420592
	v_mfma_i32_16x16x32_i8 v[144:147], a[148:149], a[4:5], v[144:147]// 00000000AE4C: D3D70090 1E420994
	ds_read_b128 a[64:67], v2 offset:16512                     // 00000000AE54: DBFE4080 40000002
	ds_read_b128 a[68:71], v2 offset:16576                     // 00000000AE5C: DBFE40C0 44000002
	v_mfma_i32_16x16x32_i8 v[144:147], a[150:151], a[6:7], v[144:147]// 00000000AE64: D3D70090 1E420D96
	v_mfma_i32_16x16x32_i8 v[176:179], a[152:153], a[0:1], v[176:179]// 00000000AE6C: D3D700B0 1EC20198
	buffer_load_dwordx4 a[132:135], v78, s[84:87], 0 offen offset:1024// 00000000AE74: E05C1400 8095844E
	v_mfma_i32_16x16x32_i8 v[176:179], a[154:155], a[2:3], v[176:179]// 00000000AE7C: D3D700B0 1EC2059A
	v_mfma_i32_16x16x32_i8 v[176:179], a[156:157], a[4:5], v[176:179]// 00000000AE84: D3D700B0 1EC2099C
	ds_read_b128 a[72:75], v2 offset:17024                     // 00000000AE8C: DBFE4280 48000002
	ds_read_b128 a[76:79], v2 offset:17088                     // 00000000AE94: DBFE42C0 4C000002
	v_mfma_i32_16x16x32_i8 v[176:179], a[158:159], a[6:7], v[176:179]// 00000000AE9C: D3D700B0 1EC20D9E
	v_mfma_i32_16x16x32_i8 v[148:151], a[144:145], a[8:9], v[148:151]// 00000000AEA4: D3D70094 1E521190
	buffer_load_dwordx4 a[136:139], v79, s[84:87], 0 offen     // 00000000AEAC: E05C1000 8095884F
	v_mfma_i32_16x16x32_i8 v[148:151], a[146:147], a[10:11], v[148:151]// 00000000AEB4: D3D70094 1E521592
	v_mfma_i32_16x16x32_i8 v[148:151], a[148:149], a[12:13], v[148:151]// 00000000AEBC: D3D70094 1E521994
	ds_read_b128 a[80:83], v2 offset:17536                     // 00000000AEC4: DBFE4480 50000002
	ds_read_b128 a[84:87], v2 offset:17600                     // 00000000AECC: DBFE44C0 54000002
	v_mfma_i32_16x16x32_i8 v[148:151], a[150:151], a[14:15], v[148:151]// 00000000AED4: D3D70094 1E521D96
	v_mfma_i32_16x16x32_i8 v[180:183], a[152:153], a[8:9], v[180:183]// 00000000AEDC: D3D700B4 1ED21198
	buffer_load_dwordx4 a[140:143], v79, s[84:87], 0 offen offset:1024// 00000000AEE4: E05C1400 80958C4F
	v_mfma_i32_16x16x32_i8 v[180:183], a[154:155], a[10:11], v[180:183]// 00000000AEEC: D3D700B4 1ED2159A
	v_mfma_i32_16x16x32_i8 v[180:183], a[156:157], a[12:13], v[180:183]// 00000000AEF4: D3D700B4 1ED2199C
	ds_read_b128 a[88:91], v2 offset:18048                     // 00000000AEFC: DBFE4680 58000002
	ds_read_b128 a[92:95], v2 offset:18112                     // 00000000AF04: DBFE46C0 5C000002
	v_mfma_i32_16x16x32_i8 v[180:183], a[158:159], a[14:15], v[180:183]// 00000000AF0C: D3D700B4 1ED21D9E
	v_mfma_i32_16x16x32_i8 v[152:155], a[144:145], a[16:17], v[152:155]// 00000000AF14: D3D70098 1E622190
	v_mfma_i32_16x16x32_i8 v[152:155], a[146:147], a[18:19], v[152:155]// 00000000AF1C: D3D70098 1E622592
	v_mfma_i32_16x16x32_i8 v[152:155], a[148:149], a[20:21], v[152:155]// 00000000AF24: D3D70098 1E622994
	ds_read_b128 a[96:99], v2 offset:18560                     // 00000000AF2C: DBFE4880 60000002
	ds_read_b128 a[100:103], v2 offset:18624                   // 00000000AF34: DBFE48C0 64000002
	v_mfma_i32_16x16x32_i8 v[152:155], a[150:151], a[22:23], v[152:155]// 00000000AF3C: D3D70098 1E622D96
	v_mfma_i32_16x16x32_i8 v[184:187], a[152:153], a[16:17], v[184:187]// 00000000AF44: D3D700B8 1EE22198
	v_mfma_i32_16x16x32_i8 v[184:187], a[154:155], a[18:19], v[184:187]// 00000000AF4C: D3D700B8 1EE2259A
	v_mfma_i32_16x16x32_i8 v[184:187], a[156:157], a[20:21], v[184:187]// 00000000AF54: D3D700B8 1EE2299C
	ds_read_b128 a[104:107], v2 offset:19072                   // 00000000AF5C: DBFE4A80 68000002
	ds_read_b128 a[108:111], v2 offset:19136                   // 00000000AF64: DBFE4AC0 6C000002
	v_mfma_i32_16x16x32_i8 v[184:187], a[158:159], a[22:23], v[184:187]// 00000000AF6C: D3D700B8 1EE22D9E
	v_mfma_i32_16x16x32_i8 v[156:159], a[144:145], a[24:25], v[156:159]// 00000000AF74: D3D7009C 1E723190
	v_mfma_i32_16x16x32_i8 v[156:159], a[146:147], a[26:27], v[156:159]// 00000000AF7C: D3D7009C 1E723592
	v_mfma_i32_16x16x32_i8 v[156:159], a[148:149], a[28:29], v[156:159]// 00000000AF84: D3D7009C 1E723994
	ds_read_b128 a[112:115], v2 offset:19584                   // 00000000AF8C: DBFE4C80 70000002
	ds_read_b128 a[116:119], v2 offset:19648                   // 00000000AF94: DBFE4CC0 74000002
	v_mfma_i32_16x16x32_i8 v[156:159], a[150:151], a[30:31], v[156:159]// 00000000AF9C: D3D7009C 1E723D96
	v_mfma_i32_16x16x32_i8 v[188:191], a[152:153], a[24:25], v[188:191]// 00000000AFA4: D3D700BC 1EF23198
	v_mfma_i32_16x16x32_i8 v[188:191], a[154:155], a[26:27], v[188:191]// 00000000AFAC: D3D700BC 1EF2359A
	v_mfma_i32_16x16x32_i8 v[188:191], a[156:157], a[28:29], v[188:191]// 00000000AFB4: D3D700BC 1EF2399C
	ds_read_b128 a[120:123], v2 offset:20096                   // 00000000AFBC: DBFE4E80 78000002
	ds_read_b128 a[124:127], v2 offset:20160                   // 00000000AFC4: DBFE4EC0 7C000002
	v_mfma_i32_16x16x32_i8 v[188:191], a[158:159], a[30:31], v[188:191]// 00000000AFCC: D3D700BC 1EF23D9E
	v_mfma_i32_16x16x32_i8 v[160:163], a[144:145], a[32:33], v[160:163]// 00000000AFD4: D3D700A0 1E824190
	v_mfma_i32_16x16x32_i8 v[160:163], a[146:147], a[34:35], v[160:163]// 00000000AFDC: D3D700A0 1E824592
	v_mfma_i32_16x16x32_i8 v[160:163], a[148:149], a[36:37], v[160:163]// 00000000AFE4: D3D700A0 1E824994
	v_mfma_i32_16x16x32_i8 v[160:163], a[150:151], a[38:39], v[160:163]// 00000000AFEC: D3D700A0 1E824D96
	v_mfma_i32_16x16x32_i8 v[192:195], a[152:153], a[32:33], v[192:195]// 00000000AFF4: D3D700C0 1F024198
	v_mfma_i32_16x16x32_i8 v[192:195], a[154:155], a[34:35], v[192:195]// 00000000AFFC: D3D700C0 1F02459A
	v_mfma_i32_16x16x32_i8 v[192:195], a[156:157], a[36:37], v[192:195]// 00000000B004: D3D700C0 1F02499C
	v_mfma_i32_16x16x32_i8 v[192:195], a[158:159], a[38:39], v[192:195]// 00000000B00C: D3D700C0 1F024D9E
	v_mfma_i32_16x16x32_i8 v[164:167], a[144:145], a[40:41], v[164:167]// 00000000B014: D3D700A4 1E925190
	v_mfma_i32_16x16x32_i8 v[164:167], a[146:147], a[42:43], v[164:167]// 00000000B01C: D3D700A4 1E925592
	v_mfma_i32_16x16x32_i8 v[164:167], a[148:149], a[44:45], v[164:167]// 00000000B024: D3D700A4 1E925994
	v_mfma_i32_16x16x32_i8 v[164:167], a[150:151], a[46:47], v[164:167]// 00000000B02C: D3D700A4 1E925D96
	v_mfma_i32_16x16x32_i8 v[196:199], a[152:153], a[40:41], v[196:199]// 00000000B034: D3D700C4 1F125198
	v_mfma_i32_16x16x32_i8 v[196:199], a[154:155], a[42:43], v[196:199]// 00000000B03C: D3D700C4 1F12559A
	v_mfma_i32_16x16x32_i8 v[196:199], a[156:157], a[44:45], v[196:199]// 00000000B044: D3D700C4 1F12599C
	v_mfma_i32_16x16x32_i8 v[196:199], a[158:159], a[46:47], v[196:199]// 00000000B04C: D3D700C4 1F125D9E
	v_mfma_i32_16x16x32_i8 v[168:171], a[144:145], a[48:49], v[168:171]// 00000000B054: D3D700A8 1EA26190
	v_mfma_i32_16x16x32_i8 v[168:171], a[146:147], a[50:51], v[168:171]// 00000000B05C: D3D700A8 1EA26592
	v_mfma_i32_16x16x32_i8 v[168:171], a[148:149], a[52:53], v[168:171]// 00000000B064: D3D700A8 1EA26994
	v_mfma_i32_16x16x32_i8 v[168:171], a[150:151], a[54:55], v[168:171]// 00000000B06C: D3D700A8 1EA26D96
	v_mfma_i32_16x16x32_i8 v[200:203], a[152:153], a[48:49], v[200:203]// 00000000B074: D3D700C8 1F226198
	v_mfma_i32_16x16x32_i8 v[200:203], a[154:155], a[50:51], v[200:203]// 00000000B07C: D3D700C8 1F22659A
	v_mfma_i32_16x16x32_i8 v[200:203], a[156:157], a[52:53], v[200:203]// 00000000B084: D3D700C8 1F22699C
	v_mfma_i32_16x16x32_i8 v[200:203], a[158:159], a[54:55], v[200:203]// 00000000B08C: D3D700C8 1F226D9E
	v_mfma_i32_16x16x32_i8 v[172:175], a[144:145], a[56:57], v[172:175]// 00000000B094: D3D700AC 1EB27190
	s_add_u32 s60, 0x180, s80                                  // 00000000B09C: 803C50FF 00000180
	s_cmp_lt_u32 s60, s81                                      // 00000000B0A4: BF0A513C
	s_cselect_b32 s57, s57, 0                                  // 00000000B0A8: 85398039
	v_mfma_i32_16x16x32_i8 v[172:175], a[146:147], a[58:59], v[172:175]// 00000000B0AC: D3D700AC 1EB27592
	s_add_u32 s60, 0x100, s80                                  // 00000000B0B4: 803C50FF 00000100
	s_cmp_lt_u32 s60, s81                                      // 00000000B0BC: BF0A513C
	s_cselect_b32 s58, s58, 0                                  // 00000000B0C0: 853A803A
	v_mfma_i32_16x16x32_i8 v[172:175], a[148:149], a[60:61], v[172:175]// 00000000B0C4: D3D700AC 1EB27994
	s_add_u32 s60, 0x100, s80                                  // 00000000B0CC: 803C50FF 00000100
	s_cmp_lt_u32 s60, s81                                      // 00000000B0D4: BF0A513C
	s_cselect_b32 s83, s83, 0                                  // 00000000B0D8: 85538053
	v_mfma_i32_16x16x32_i8 v[172:175], a[150:151], a[62:63], v[172:175]// 00000000B0DC: D3D700AC 1EB27D96
	s_add_u32 s24, s58, s24                                    // 00000000B0E4: 8018183A
	s_addc_u32 s25, 0, s25                                     // 00000000B0E8: 82191980
	v_mfma_i32_16x16x32_i8 v[204:207], a[152:153], a[56:57], v[204:207]// 00000000B0EC: D3D700CC 1F327198
	s_add_u32 s20, s57, s20                                    // 00000000B0F4: 80141439
	s_addc_u32 s21, 0, s21                                     // 00000000B0F8: 82151580
	v_mfma_i32_16x16x32_i8 v[204:207], a[154:155], a[58:59], v[204:207]// 00000000B0FC: D3D700CC 1F32759A
	s_add_u32 s84, s83, s84                                    // 00000000B104: 80545453
	s_addc_u32 s85, 0, s85                                     // 00000000B108: 82555580
	v_mfma_i32_16x16x32_i8 v[204:207], a[156:157], a[60:61], v[204:207]// 00000000B10C: D3D700CC 1F32799C
	v_mfma_i32_16x16x32_i8 v[204:207], a[158:159], a[62:63], v[204:207]// 00000000B114: D3D700CC 1F327D9E
	s_addk_i32 s80, 0x80                                       // 00000000B11C: B7500080
	s_cmp_lt_i32 s80, s81                                      // 00000000B120: BF045150
	s_cbranch_scc0 label_2971                                  // 00000000B124: BF8407A4
	s_waitcnt vmcnt(20) lgkmcnt(0)                             // 00000000B128: BF8C4074
	v_mfma_i32_16x16x32_i8 v[80:83], a[160:161], a[64:65], v[80:83]// 00000000B12C: D3D70050 1D4281A0
	buffer_load_dwordx4 a[144:147], v78, s[24:27], 0 offen     // 00000000B134: E05C1000 8086904E
	v_mfma_i32_16x16x32_i8 v[80:83], a[162:163], a[66:67], v[80:83]// 00000000B13C: D3D70050 1D4285A2
	v_mfma_i32_16x16x32_i8 v[80:83], a[164:165], a[68:69], v[80:83]// 00000000B144: D3D70050 1D4289A4
	v_mfma_i32_16x16x32_i8 v[80:83], a[166:167], a[70:71], v[80:83]// 00000000B14C: D3D70050 1D428DA6
	v_mfma_i32_16x16x32_i8 v[112:115], a[168:169], a[64:65], v[112:115]// 00000000B154: D3D70070 1DC281A8
	buffer_load_dwordx4 a[148:151], v78, s[24:27], 0 offen offset:1024// 00000000B15C: E05C1400 8086944E
	v_mfma_i32_16x16x32_i8 v[112:115], a[170:171], a[66:67], v[112:115]// 00000000B164: D3D70070 1DC285AA
	v_mfma_i32_16x16x32_i8 v[112:115], a[172:173], a[68:69], v[112:115]// 00000000B16C: D3D70070 1DC289AC
	v_mfma_i32_16x16x32_i8 v[112:115], a[174:175], a[70:71], v[112:115]// 00000000B174: D3D70070 1DC28DAE
	v_mfma_i32_16x16x32_i8 v[84:87], a[160:161], a[72:73], v[84:87]// 00000000B17C: D3D70054 1D5291A0
	buffer_load_dwordx4 a[152:155], v79, s[24:27], 0 offen     // 00000000B184: E05C1000 8086984F
	v_mfma_i32_16x16x32_i8 v[84:87], a[162:163], a[74:75], v[84:87]// 00000000B18C: D3D70054 1D5295A2
	v_mfma_i32_16x16x32_i8 v[84:87], a[164:165], a[76:77], v[84:87]// 00000000B194: D3D70054 1D5299A4
	v_mfma_i32_16x16x32_i8 v[84:87], a[166:167], a[78:79], v[84:87]// 00000000B19C: D3D70054 1D529DA6
	v_mfma_i32_16x16x32_i8 v[116:119], a[168:169], a[72:73], v[116:119]// 00000000B1A4: D3D70074 1DD291A8
	buffer_load_dwordx4 a[156:159], v79, s[24:27], 0 offen offset:1024// 00000000B1AC: E05C1400 80869C4F
	buffer_load_dword v62, s[20:23], 0 offen lds               // 00000000B1B4: E0511000 8005003E
	s_add_u32 m0, 0x100, s48                                   // 00000000B1BC: 807C30FF 00000100
	v_mfma_i32_16x16x32_i8 v[116:119], a[170:171], a[74:75], v[116:119]// 00000000B1C4: D3D70074 1DD295AA
	v_mfma_i32_16x16x32_i8 v[116:119], a[172:173], a[76:77], v[116:119]// 00000000B1CC: D3D70074 1DD299AC
	buffer_load_dword v63, s[20:23], 0 offen lds               // 00000000B1D4: E0511000 8005003F
	s_add_u32 m0, 0x200, s48                                   // 00000000B1DC: 807C30FF 00000200
	v_mfma_i32_16x16x32_i8 v[116:119], a[174:175], a[78:79], v[116:119]// 00000000B1E4: D3D70074 1DD29DAE
	v_mfma_i32_16x16x32_i8 v[88:91], a[160:161], a[80:81], v[88:91]// 00000000B1EC: D3D70058 1D62A1A0
	buffer_load_dword v64, s[20:23], 0 offen lds               // 00000000B1F4: E0511000 80050040
	s_add_u32 m0, 0x300, s48                                   // 00000000B1FC: 807C30FF 00000300
	v_mfma_i32_16x16x32_i8 v[88:91], a[162:163], a[82:83], v[88:91]// 00000000B204: D3D70058 1D62A5A2
	v_mfma_i32_16x16x32_i8 v[88:91], a[164:165], a[84:85], v[88:91]// 00000000B20C: D3D70058 1D62A9A4
	buffer_load_dword v65, s[20:23], 0 offen lds               // 00000000B214: E0511000 80050041
	s_add_u32 m0, 0x400, s48                                   // 00000000B21C: 807C30FF 00000400
	v_mfma_i32_16x16x32_i8 v[88:91], a[166:167], a[86:87], v[88:91]// 00000000B224: D3D70058 1D62ADA6
	v_mfma_i32_16x16x32_i8 v[120:123], a[168:169], a[80:81], v[120:123]// 00000000B22C: D3D70078 1DE2A1A8
	buffer_load_dword v66, s[20:23], 0 offen lds               // 00000000B234: E0511000 80050042
	s_add_u32 m0, 0x500, s48                                   // 00000000B23C: 807C30FF 00000500
	v_mfma_i32_16x16x32_i8 v[120:123], a[170:171], a[82:83], v[120:123]// 00000000B244: D3D70078 1DE2A5AA
	v_mfma_i32_16x16x32_i8 v[120:123], a[172:173], a[84:85], v[120:123]// 00000000B24C: D3D70078 1DE2A9AC
	buffer_load_dword v67, s[20:23], 0 offen lds               // 00000000B254: E0511000 80050043
	s_add_u32 m0, 0x600, s48                                   // 00000000B25C: 807C30FF 00000600
	v_mfma_i32_16x16x32_i8 v[120:123], a[174:175], a[86:87], v[120:123]// 00000000B264: D3D70078 1DE2ADAE
	v_mfma_i32_16x16x32_i8 v[92:95], a[160:161], a[88:89], v[92:95]// 00000000B26C: D3D7005C 1D72B1A0
	buffer_load_dword v68, s[20:23], 0 offen lds               // 00000000B274: E0511000 80050044
	s_add_u32 m0, 0x700, s48                                   // 00000000B27C: 807C30FF 00000700
	v_mfma_i32_16x16x32_i8 v[92:95], a[162:163], a[90:91], v[92:95]// 00000000B284: D3D7005C 1D72B5A2
	v_mfma_i32_16x16x32_i8 v[92:95], a[164:165], a[92:93], v[92:95]// 00000000B28C: D3D7005C 1D72B9A4
	buffer_load_dword v69, s[20:23], 0 offen lds               // 00000000B294: E0511000 80050045
	s_add_u32 m0, 0x800, s48                                   // 00000000B29C: 807C30FF 00000800
	v_mfma_i32_16x16x32_i8 v[92:95], a[166:167], a[94:95], v[92:95]// 00000000B2A4: D3D7005C 1D72BDA6
	v_mfma_i32_16x16x32_i8 v[124:127], a[168:169], a[88:89], v[124:127]// 00000000B2AC: D3D7007C 1DF2B1A8
	buffer_load_dword v70, s[20:23], 0 offen lds               // 00000000B2B4: E0511000 80050046
	s_add_u32 m0, 0x900, s48                                   // 00000000B2BC: 807C30FF 00000900
	v_mfma_i32_16x16x32_i8 v[124:127], a[170:171], a[90:91], v[124:127]// 00000000B2C4: D3D7007C 1DF2B5AA
	v_mfma_i32_16x16x32_i8 v[124:127], a[172:173], a[92:93], v[124:127]// 00000000B2CC: D3D7007C 1DF2B9AC
	buffer_load_dword v71, s[20:23], 0 offen lds               // 00000000B2D4: E0511000 80050047
	s_add_u32 m0, 0xa00, s48                                   // 00000000B2DC: 807C30FF 00000A00
	v_mfma_i32_16x16x32_i8 v[124:127], a[174:175], a[94:95], v[124:127]// 00000000B2E4: D3D7007C 1DF2BDAE
	v_mfma_i32_16x16x32_i8 v[96:99], a[160:161], a[96:97], v[96:99]// 00000000B2EC: D3D70060 1D82C1A0
	v_mfma_i32_16x16x32_i8 v[96:99], a[162:163], a[98:99], v[96:99]// 00000000B2F4: D3D70060 1D82C5A2
	v_mfma_i32_16x16x32_i8 v[96:99], a[164:165], a[100:101], v[96:99]// 00000000B2FC: D3D70060 1D82C9A4
	v_mfma_i32_16x16x32_i8 v[96:99], a[166:167], a[102:103], v[96:99]// 00000000B304: D3D70060 1D82CDA6
	v_mfma_i32_16x16x32_i8 v[128:131], a[168:169], a[96:97], v[128:131]// 00000000B30C: D3D70080 1E02C1A8
	v_mfma_i32_16x16x32_i8 v[128:131], a[170:171], a[98:99], v[128:131]// 00000000B314: D3D70080 1E02C5AA
	v_mfma_i32_16x16x32_i8 v[128:131], a[172:173], a[100:101], v[128:131]// 00000000B31C: D3D70080 1E02C9AC
	v_mfma_i32_16x16x32_i8 v[128:131], a[174:175], a[102:103], v[128:131]// 00000000B324: D3D70080 1E02CDAE
	v_mfma_i32_16x16x32_i8 v[100:103], a[160:161], a[104:105], v[100:103]// 00000000B32C: D3D70064 1D92D1A0
	buffer_load_dword v72, s[20:23], 0 offen lds               // 00000000B334: E0511000 80050048
	s_add_u32 m0, 0xb00, s48                                   // 00000000B33C: 807C30FF 00000B00
	v_mfma_i32_16x16x32_i8 v[100:103], a[162:163], a[106:107], v[100:103]// 00000000B344: D3D70064 1D92D5A2
	v_mfma_i32_16x16x32_i8 v[100:103], a[164:165], a[108:109], v[100:103]// 00000000B34C: D3D70064 1D92D9A4
	buffer_load_dword v73, s[20:23], 0 offen lds               // 00000000B354: E0511000 80050049
	s_add_u32 m0, 0xc00, s48                                   // 00000000B35C: 807C30FF 00000C00
	v_mfma_i32_16x16x32_i8 v[100:103], a[166:167], a[110:111], v[100:103]// 00000000B364: D3D70064 1D92DDA6
	v_mfma_i32_16x16x32_i8 v[132:135], a[168:169], a[104:105], v[132:135]// 00000000B36C: D3D70084 1E12D1A8
	buffer_load_dword v74, s[20:23], 0 offen lds               // 00000000B374: E0511000 8005004A
	s_add_u32 m0, 0xd00, s48                                   // 00000000B37C: 807C30FF 00000D00
	v_mfma_i32_16x16x32_i8 v[132:135], a[170:171], a[106:107], v[132:135]// 00000000B384: D3D70084 1E12D5AA
	v_mfma_i32_16x16x32_i8 v[132:135], a[172:173], a[108:109], v[132:135]// 00000000B38C: D3D70084 1E12D9AC
	buffer_load_dword v75, s[20:23], 0 offen lds               // 00000000B394: E0511000 8005004B
	s_add_u32 m0, 0xe00, s48                                   // 00000000B39C: 807C30FF 00000E00
	v_mfma_i32_16x16x32_i8 v[132:135], a[174:175], a[110:111], v[132:135]// 00000000B3A4: D3D70084 1E12DDAE
	v_mfma_i32_16x16x32_i8 v[104:107], a[160:161], a[112:113], v[104:107]// 00000000B3AC: D3D70068 1DA2E1A0
	v_mfma_i32_16x16x32_i8 v[104:107], a[162:163], a[114:115], v[104:107]// 00000000B3B4: D3D70068 1DA2E5A2
	v_mfma_i32_16x16x32_i8 v[104:107], a[164:165], a[116:117], v[104:107]// 00000000B3BC: D3D70068 1DA2E9A4
	v_mfma_i32_16x16x32_i8 v[104:107], a[166:167], a[118:119], v[104:107]// 00000000B3C4: D3D70068 1DA2EDA6
	v_mfma_i32_16x16x32_i8 v[136:139], a[168:169], a[112:113], v[136:139]// 00000000B3CC: D3D70088 1E22E1A8
	v_mfma_i32_16x16x32_i8 v[136:139], a[170:171], a[114:115], v[136:139]// 00000000B3D4: D3D70088 1E22E5AA
	v_mfma_i32_16x16x32_i8 v[136:139], a[172:173], a[116:117], v[136:139]// 00000000B3DC: D3D70088 1E22E9AC
	v_mfma_i32_16x16x32_i8 v[136:139], a[174:175], a[118:119], v[136:139]// 00000000B3E4: D3D70088 1E22EDAE
	v_mfma_i32_16x16x32_i8 v[108:111], a[160:161], a[120:121], v[108:111]// 00000000B3EC: D3D7006C 1DB2F1A0
	buffer_load_dword v76, s[20:23], 0 offen lds               // 00000000B3F4: E0511000 8005004C
	s_add_u32 m0, 0xf00, s48                                   // 00000000B3FC: 807C30FF 00000F00
	v_mfma_i32_16x16x32_i8 v[108:111], a[162:163], a[122:123], v[108:111]// 00000000B404: D3D7006C 1DB2F5A2
	v_mfma_i32_16x16x32_i8 v[108:111], a[164:165], a[124:125], v[108:111]// 00000000B40C: D3D7006C 1DB2F9A4
	buffer_load_dword v77, s[20:23], 0 offen lds               // 00000000B414: E0511000 8005004D
	s_add_u32 m0, 0, s49                                       // 00000000B41C: 807C3180
	v_mfma_i32_16x16x32_i8 v[108:111], a[166:167], a[126:127], v[108:111]// 00000000B420: D3D7006C 1DB2FDA6
	v_mfma_i32_16x16x32_i8 v[140:143], a[168:169], a[120:121], v[140:143]// 00000000B428: D3D7008C 1E32F1A8
	v_mfma_i32_16x16x32_i8 v[140:143], a[170:171], a[122:123], v[140:143]// 00000000B430: D3D7008C 1E32F5AA
	v_mfma_i32_16x16x32_i8 v[140:143], a[172:173], a[124:125], v[140:143]// 00000000B438: D3D7008C 1E32F9AC
	v_mfma_i32_16x16x32_i8 v[140:143], a[174:175], a[126:127], v[140:143]// 00000000B440: D3D7008C 1E32FDAE
	s_waitcnt vmcnt(20)                                        // 00000000B448: BF8C4F74
	s_barrier                                                  // 00000000B44C: BF8A0000
	v_mfma_i32_16x16x32_i8 v[144:147], a[128:129], a[64:65], v[144:147]// 00000000B450: D3D70090 1E428180
	buffer_load_dwordx4 a[160:163], v78, s[84:87], 0 offen     // 00000000B458: E05C1000 8095A04E
	v_mfma_i32_16x16x32_i8 v[144:147], a[130:131], a[66:67], v[144:147]// 00000000B460: D3D70090 1E428582
	v_mfma_i32_16x16x32_i8 v[144:147], a[132:133], a[68:69], v[144:147]// 00000000B468: D3D70090 1E428984
	ds_read_b128 a[0:3], v2 offset:33024                       // 00000000B470: DBFE8100 00000002
	ds_read_b128 a[4:7], v2 offset:33088                       // 00000000B478: DBFE8140 04000002
	v_mfma_i32_16x16x32_i8 v[144:147], a[134:135], a[70:71], v[144:147]// 00000000B480: D3D70090 1E428D86
	v_mfma_i32_16x16x32_i8 v[176:179], a[136:137], a[64:65], v[176:179]// 00000000B488: D3D700B0 1EC28188
	buffer_load_dwordx4 a[164:167], v78, s[84:87], 0 offen offset:1024// 00000000B490: E05C1400 8095A44E
	v_mfma_i32_16x16x32_i8 v[176:179], a[138:139], a[66:67], v[176:179]// 00000000B498: D3D700B0 1EC2858A
	v_mfma_i32_16x16x32_i8 v[176:179], a[140:141], a[68:69], v[176:179]// 00000000B4A0: D3D700B0 1EC2898C
	ds_read_b128 a[8:11], v2 offset:33536                      // 00000000B4A8: DBFE8300 08000002
	ds_read_b128 a[12:15], v2 offset:33600                     // 00000000B4B0: DBFE8340 0C000002
	v_mfma_i32_16x16x32_i8 v[176:179], a[142:143], a[70:71], v[176:179]// 00000000B4B8: D3D700B0 1EC28D8E
	v_mfma_i32_16x16x32_i8 v[148:151], a[128:129], a[72:73], v[148:151]// 00000000B4C0: D3D70094 1E529180
	buffer_load_dwordx4 a[168:171], v79, s[84:87], 0 offen     // 00000000B4C8: E05C1000 8095A84F
	v_mfma_i32_16x16x32_i8 v[148:151], a[130:131], a[74:75], v[148:151]// 00000000B4D0: D3D70094 1E529582
	v_mfma_i32_16x16x32_i8 v[148:151], a[132:133], a[76:77], v[148:151]// 00000000B4D8: D3D70094 1E529984
	ds_read_b128 a[16:19], v2 offset:34048                     // 00000000B4E0: DBFE8500 10000002
	ds_read_b128 a[20:23], v2 offset:34112                     // 00000000B4E8: DBFE8540 14000002
	v_mfma_i32_16x16x32_i8 v[148:151], a[134:135], a[78:79], v[148:151]// 00000000B4F0: D3D70094 1E529D86
	v_mfma_i32_16x16x32_i8 v[180:183], a[136:137], a[72:73], v[180:183]// 00000000B4F8: D3D700B4 1ED29188
	buffer_load_dwordx4 a[172:175], v79, s[84:87], 0 offen offset:1024// 00000000B500: E05C1400 8095AC4F
	v_mfma_i32_16x16x32_i8 v[180:183], a[138:139], a[74:75], v[180:183]// 00000000B508: D3D700B4 1ED2958A
	v_mfma_i32_16x16x32_i8 v[180:183], a[140:141], a[76:77], v[180:183]// 00000000B510: D3D700B4 1ED2998C
	ds_read_b128 a[24:27], v2 offset:34560                     // 00000000B518: DBFE8700 18000002
	ds_read_b128 a[28:31], v2 offset:34624                     // 00000000B520: DBFE8740 1C000002
	v_mfma_i32_16x16x32_i8 v[180:183], a[142:143], a[78:79], v[180:183]// 00000000B528: D3D700B4 1ED29D8E
	v_mfma_i32_16x16x32_i8 v[152:155], a[128:129], a[80:81], v[152:155]// 00000000B530: D3D70098 1E62A180
	v_mfma_i32_16x16x32_i8 v[152:155], a[130:131], a[82:83], v[152:155]// 00000000B538: D3D70098 1E62A582
	v_mfma_i32_16x16x32_i8 v[152:155], a[132:133], a[84:85], v[152:155]// 00000000B540: D3D70098 1E62A984
	ds_read_b128 a[32:35], v2 offset:35072                     // 00000000B548: DBFE8900 20000002
	ds_read_b128 a[36:39], v2 offset:35136                     // 00000000B550: DBFE8940 24000002
	v_mfma_i32_16x16x32_i8 v[152:155], a[134:135], a[86:87], v[152:155]// 00000000B558: D3D70098 1E62AD86
	v_mfma_i32_16x16x32_i8 v[184:187], a[136:137], a[80:81], v[184:187]// 00000000B560: D3D700B8 1EE2A188
	v_mfma_i32_16x16x32_i8 v[184:187], a[138:139], a[82:83], v[184:187]// 00000000B568: D3D700B8 1EE2A58A
	v_mfma_i32_16x16x32_i8 v[184:187], a[140:141], a[84:85], v[184:187]// 00000000B570: D3D700B8 1EE2A98C
	ds_read_b128 a[40:43], v2 offset:35584                     // 00000000B578: DBFE8B00 28000002
	ds_read_b128 a[44:47], v2 offset:35648                     // 00000000B580: DBFE8B40 2C000002
	v_mfma_i32_16x16x32_i8 v[184:187], a[142:143], a[86:87], v[184:187]// 00000000B588: D3D700B8 1EE2AD8E
	v_mfma_i32_16x16x32_i8 v[156:159], a[128:129], a[88:89], v[156:159]// 00000000B590: D3D7009C 1E72B180
	v_mfma_i32_16x16x32_i8 v[156:159], a[130:131], a[90:91], v[156:159]// 00000000B598: D3D7009C 1E72B582
	v_mfma_i32_16x16x32_i8 v[156:159], a[132:133], a[92:93], v[156:159]// 00000000B5A0: D3D7009C 1E72B984
	ds_read_b128 a[48:51], v2 offset:36096                     // 00000000B5A8: DBFE8D00 30000002
	ds_read_b128 a[52:55], v2 offset:36160                     // 00000000B5B0: DBFE8D40 34000002
	v_mfma_i32_16x16x32_i8 v[156:159], a[134:135], a[94:95], v[156:159]// 00000000B5B8: D3D7009C 1E72BD86
	v_mfma_i32_16x16x32_i8 v[188:191], a[136:137], a[88:89], v[188:191]// 00000000B5C0: D3D700BC 1EF2B188
	v_mfma_i32_16x16x32_i8 v[188:191], a[138:139], a[90:91], v[188:191]// 00000000B5C8: D3D700BC 1EF2B58A
	v_mfma_i32_16x16x32_i8 v[188:191], a[140:141], a[92:93], v[188:191]// 00000000B5D0: D3D700BC 1EF2B98C
	ds_read_b128 a[56:59], v2 offset:36608                     // 00000000B5D8: DBFE8F00 38000002
	ds_read_b128 a[60:63], v2 offset:36672                     // 00000000B5E0: DBFE8F40 3C000002
	v_mfma_i32_16x16x32_i8 v[188:191], a[142:143], a[94:95], v[188:191]// 00000000B5E8: D3D700BC 1EF2BD8E
	v_mfma_i32_16x16x32_i8 v[160:163], a[128:129], a[96:97], v[160:163]// 00000000B5F0: D3D700A0 1E82C180
	v_mfma_i32_16x16x32_i8 v[160:163], a[130:131], a[98:99], v[160:163]// 00000000B5F8: D3D700A0 1E82C582
	v_mfma_i32_16x16x32_i8 v[160:163], a[132:133], a[100:101], v[160:163]// 00000000B600: D3D700A0 1E82C984
	v_mfma_i32_16x16x32_i8 v[160:163], a[134:135], a[102:103], v[160:163]// 00000000B608: D3D700A0 1E82CD86
	v_mfma_i32_16x16x32_i8 v[192:195], a[136:137], a[96:97], v[192:195]// 00000000B610: D3D700C0 1F02C188
	v_mfma_i32_16x16x32_i8 v[192:195], a[138:139], a[98:99], v[192:195]// 00000000B618: D3D700C0 1F02C58A
	v_mfma_i32_16x16x32_i8 v[192:195], a[140:141], a[100:101], v[192:195]// 00000000B620: D3D700C0 1F02C98C
	v_mfma_i32_16x16x32_i8 v[192:195], a[142:143], a[102:103], v[192:195]// 00000000B628: D3D700C0 1F02CD8E
	v_mfma_i32_16x16x32_i8 v[164:167], a[128:129], a[104:105], v[164:167]// 00000000B630: D3D700A4 1E92D180
	v_mfma_i32_16x16x32_i8 v[164:167], a[130:131], a[106:107], v[164:167]// 00000000B638: D3D700A4 1E92D582
	v_mfma_i32_16x16x32_i8 v[164:167], a[132:133], a[108:109], v[164:167]// 00000000B640: D3D700A4 1E92D984
	v_mfma_i32_16x16x32_i8 v[164:167], a[134:135], a[110:111], v[164:167]// 00000000B648: D3D700A4 1E92DD86
	v_mfma_i32_16x16x32_i8 v[196:199], a[136:137], a[104:105], v[196:199]// 00000000B650: D3D700C4 1F12D188
	v_mfma_i32_16x16x32_i8 v[196:199], a[138:139], a[106:107], v[196:199]// 00000000B658: D3D700C4 1F12D58A
	v_mfma_i32_16x16x32_i8 v[196:199], a[140:141], a[108:109], v[196:199]// 00000000B660: D3D700C4 1F12D98C
	v_mfma_i32_16x16x32_i8 v[196:199], a[142:143], a[110:111], v[196:199]// 00000000B668: D3D700C4 1F12DD8E
	v_mfma_i32_16x16x32_i8 v[168:171], a[128:129], a[112:113], v[168:171]// 00000000B670: D3D700A8 1EA2E180
	v_mfma_i32_16x16x32_i8 v[168:171], a[130:131], a[114:115], v[168:171]// 00000000B678: D3D700A8 1EA2E582
	v_mfma_i32_16x16x32_i8 v[168:171], a[132:133], a[116:117], v[168:171]// 00000000B680: D3D700A8 1EA2E984
	v_mfma_i32_16x16x32_i8 v[168:171], a[134:135], a[118:119], v[168:171]// 00000000B688: D3D700A8 1EA2ED86
	v_mfma_i32_16x16x32_i8 v[200:203], a[136:137], a[112:113], v[200:203]// 00000000B690: D3D700C8 1F22E188
	v_mfma_i32_16x16x32_i8 v[200:203], a[138:139], a[114:115], v[200:203]// 00000000B698: D3D700C8 1F22E58A
	v_mfma_i32_16x16x32_i8 v[200:203], a[140:141], a[116:117], v[200:203]// 00000000B6A0: D3D700C8 1F22E98C
	v_mfma_i32_16x16x32_i8 v[200:203], a[142:143], a[118:119], v[200:203]// 00000000B6A8: D3D700C8 1F22ED8E
	v_mfma_i32_16x16x32_i8 v[172:175], a[128:129], a[120:121], v[172:175]// 00000000B6B0: D3D700AC 1EB2F180
	s_add_u32 s60, 0x180, s80                                  // 00000000B6B8: 803C50FF 00000180
	s_cmp_lt_u32 s60, s81                                      // 00000000B6C0: BF0A513C
	s_cselect_b32 s57, s57, 0                                  // 00000000B6C4: 85398039
	v_mfma_i32_16x16x32_i8 v[172:175], a[130:131], a[122:123], v[172:175]// 00000000B6C8: D3D700AC 1EB2F582
	s_add_u32 s60, 0x100, s80                                  // 00000000B6D0: 803C50FF 00000100
	s_cmp_lt_u32 s60, s81                                      // 00000000B6D8: BF0A513C
	s_cselect_b32 s58, s58, 0                                  // 00000000B6DC: 853A803A
	v_mfma_i32_16x16x32_i8 v[172:175], a[132:133], a[124:125], v[172:175]// 00000000B6E0: D3D700AC 1EB2F984
	s_add_u32 s60, 0x100, s80                                  // 00000000B6E8: 803C50FF 00000100
	s_cmp_lt_u32 s60, s81                                      // 00000000B6F0: BF0A513C
	s_cselect_b32 s83, s83, 0                                  // 00000000B6F4: 85538053
	v_mfma_i32_16x16x32_i8 v[172:175], a[134:135], a[126:127], v[172:175]// 00000000B6F8: D3D700AC 1EB2FD86
	s_add_u32 s24, s58, s24                                    // 00000000B700: 8018183A
	s_addc_u32 s25, 0, s25                                     // 00000000B704: 82191980
	v_mfma_i32_16x16x32_i8 v[204:207], a[136:137], a[120:121], v[204:207]// 00000000B708: D3D700CC 1F32F188
	s_add_u32 s20, s57, s20                                    // 00000000B710: 80141439
	s_addc_u32 s21, 0, s21                                     // 00000000B714: 82151580
	v_mfma_i32_16x16x32_i8 v[204:207], a[138:139], a[122:123], v[204:207]// 00000000B718: D3D700CC 1F32F58A
	s_add_u32 s84, s83, s84                                    // 00000000B720: 80545453
	s_addc_u32 s85, 0, s85                                     // 00000000B724: 82555580
	v_mfma_i32_16x16x32_i8 v[204:207], a[140:141], a[124:125], v[204:207]// 00000000B728: D3D700CC 1F32F98C
	v_mfma_i32_16x16x32_i8 v[204:207], a[142:143], a[126:127], v[204:207]// 00000000B730: D3D700CC 1F32FD8E
	s_addk_i32 s80, 0x80                                       // 00000000B738: B7500080
	s_cmp_lt_i32 s80, s81                                      // 00000000B73C: BF045150
	s_cbranch_scc0 label_2971                                  // 00000000B740: BF84061D
	s_waitcnt vmcnt(20) lgkmcnt(0)                             // 00000000B744: BF8C4074
	v_mfma_i32_16x16x32_i8 v[80:83], a[144:145], a[0:1], v[80:83]// 00000000B748: D3D70050 1D420190
	buffer_load_dwordx4 a[128:131], v78, s[24:27], 0 offen     // 00000000B750: E05C1000 8086804E
	v_mfma_i32_16x16x32_i8 v[80:83], a[146:147], a[2:3], v[80:83]// 00000000B758: D3D70050 1D420592
	v_mfma_i32_16x16x32_i8 v[80:83], a[148:149], a[4:5], v[80:83]// 00000000B760: D3D70050 1D420994
	v_mfma_i32_16x16x32_i8 v[80:83], a[150:151], a[6:7], v[80:83]// 00000000B768: D3D70050 1D420D96
	v_mfma_i32_16x16x32_i8 v[112:115], a[152:153], a[0:1], v[112:115]// 00000000B770: D3D70070 1DC20198
	buffer_load_dwordx4 a[132:135], v78, s[24:27], 0 offen offset:1024// 00000000B778: E05C1400 8086844E
	v_mfma_i32_16x16x32_i8 v[112:115], a[154:155], a[2:3], v[112:115]// 00000000B780: D3D70070 1DC2059A
	v_mfma_i32_16x16x32_i8 v[112:115], a[156:157], a[4:5], v[112:115]// 00000000B788: D3D70070 1DC2099C
	v_mfma_i32_16x16x32_i8 v[112:115], a[158:159], a[6:7], v[112:115]// 00000000B790: D3D70070 1DC20D9E
	v_mfma_i32_16x16x32_i8 v[84:87], a[144:145], a[8:9], v[84:87]// 00000000B798: D3D70054 1D521190
	buffer_load_dwordx4 a[136:139], v79, s[24:27], 0 offen     // 00000000B7A0: E05C1000 8086884F
	v_mfma_i32_16x16x32_i8 v[84:87], a[146:147], a[10:11], v[84:87]// 00000000B7A8: D3D70054 1D521592
	v_mfma_i32_16x16x32_i8 v[84:87], a[148:149], a[12:13], v[84:87]// 00000000B7B0: D3D70054 1D521994
	v_mfma_i32_16x16x32_i8 v[84:87], a[150:151], a[14:15], v[84:87]// 00000000B7B8: D3D70054 1D521D96
	v_mfma_i32_16x16x32_i8 v[116:119], a[152:153], a[8:9], v[116:119]// 00000000B7C0: D3D70074 1DD21198
	buffer_load_dwordx4 a[140:143], v79, s[24:27], 0 offen offset:1024// 00000000B7C8: E05C1400 80868C4F
	buffer_load_dword v62, s[20:23], 0 offen lds               // 00000000B7D0: E0511000 8005003E
	s_add_u32 m0, 0x100, s49                                   // 00000000B7D8: 807C31FF 00000100
	v_mfma_i32_16x16x32_i8 v[116:119], a[154:155], a[10:11], v[116:119]// 00000000B7E0: D3D70074 1DD2159A
	v_mfma_i32_16x16x32_i8 v[116:119], a[156:157], a[12:13], v[116:119]// 00000000B7E8: D3D70074 1DD2199C
	buffer_load_dword v63, s[20:23], 0 offen lds               // 00000000B7F0: E0511000 8005003F
	s_add_u32 m0, 0x200, s49                                   // 00000000B7F8: 807C31FF 00000200
	v_mfma_i32_16x16x32_i8 v[116:119], a[158:159], a[14:15], v[116:119]// 00000000B800: D3D70074 1DD21D9E
	v_mfma_i32_16x16x32_i8 v[88:91], a[144:145], a[16:17], v[88:91]// 00000000B808: D3D70058 1D622190
	buffer_load_dword v64, s[20:23], 0 offen lds               // 00000000B810: E0511000 80050040
	s_add_u32 m0, 0x300, s49                                   // 00000000B818: 807C31FF 00000300
	v_mfma_i32_16x16x32_i8 v[88:91], a[146:147], a[18:19], v[88:91]// 00000000B820: D3D70058 1D622592
	v_mfma_i32_16x16x32_i8 v[88:91], a[148:149], a[20:21], v[88:91]// 00000000B828: D3D70058 1D622994
	buffer_load_dword v65, s[20:23], 0 offen lds               // 00000000B830: E0511000 80050041
	s_add_u32 m0, 0x400, s49                                   // 00000000B838: 807C31FF 00000400
	v_mfma_i32_16x16x32_i8 v[88:91], a[150:151], a[22:23], v[88:91]// 00000000B840: D3D70058 1D622D96
	v_mfma_i32_16x16x32_i8 v[120:123], a[152:153], a[16:17], v[120:123]// 00000000B848: D3D70078 1DE22198
	buffer_load_dword v66, s[20:23], 0 offen lds               // 00000000B850: E0511000 80050042
	s_add_u32 m0, 0x500, s49                                   // 00000000B858: 807C31FF 00000500
	v_mfma_i32_16x16x32_i8 v[120:123], a[154:155], a[18:19], v[120:123]// 00000000B860: D3D70078 1DE2259A
	v_mfma_i32_16x16x32_i8 v[120:123], a[156:157], a[20:21], v[120:123]// 00000000B868: D3D70078 1DE2299C
	buffer_load_dword v67, s[20:23], 0 offen lds               // 00000000B870: E0511000 80050043
	s_add_u32 m0, 0x600, s49                                   // 00000000B878: 807C31FF 00000600
	v_mfma_i32_16x16x32_i8 v[120:123], a[158:159], a[22:23], v[120:123]// 00000000B880: D3D70078 1DE22D9E
	v_mfma_i32_16x16x32_i8 v[92:95], a[144:145], a[24:25], v[92:95]// 00000000B888: D3D7005C 1D723190
	buffer_load_dword v68, s[20:23], 0 offen lds               // 00000000B890: E0511000 80050044
	s_add_u32 m0, 0x700, s49                                   // 00000000B898: 807C31FF 00000700
	v_mfma_i32_16x16x32_i8 v[92:95], a[146:147], a[26:27], v[92:95]// 00000000B8A0: D3D7005C 1D723592
	v_mfma_i32_16x16x32_i8 v[92:95], a[148:149], a[28:29], v[92:95]// 00000000B8A8: D3D7005C 1D723994
	buffer_load_dword v69, s[20:23], 0 offen lds               // 00000000B8B0: E0511000 80050045
	s_add_u32 m0, 0x800, s49                                   // 00000000B8B8: 807C31FF 00000800
	v_mfma_i32_16x16x32_i8 v[92:95], a[150:151], a[30:31], v[92:95]// 00000000B8C0: D3D7005C 1D723D96
	v_mfma_i32_16x16x32_i8 v[124:127], a[152:153], a[24:25], v[124:127]// 00000000B8C8: D3D7007C 1DF23198
	buffer_load_dword v70, s[20:23], 0 offen lds               // 00000000B8D0: E0511000 80050046
	s_add_u32 m0, 0x900, s49                                   // 00000000B8D8: 807C31FF 00000900
	v_mfma_i32_16x16x32_i8 v[124:127], a[154:155], a[26:27], v[124:127]// 00000000B8E0: D3D7007C 1DF2359A
	v_mfma_i32_16x16x32_i8 v[124:127], a[156:157], a[28:29], v[124:127]// 00000000B8E8: D3D7007C 1DF2399C
	buffer_load_dword v71, s[20:23], 0 offen lds               // 00000000B8F0: E0511000 80050047
	s_add_u32 m0, 0xa00, s49                                   // 00000000B8F8: 807C31FF 00000A00
	v_mfma_i32_16x16x32_i8 v[124:127], a[158:159], a[30:31], v[124:127]// 00000000B900: D3D7007C 1DF23D9E
	v_mfma_i32_16x16x32_i8 v[96:99], a[144:145], a[32:33], v[96:99]// 00000000B908: D3D70060 1D824190
	v_mfma_i32_16x16x32_i8 v[96:99], a[146:147], a[34:35], v[96:99]// 00000000B910: D3D70060 1D824592
	v_mfma_i32_16x16x32_i8 v[96:99], a[148:149], a[36:37], v[96:99]// 00000000B918: D3D70060 1D824994
	v_mfma_i32_16x16x32_i8 v[96:99], a[150:151], a[38:39], v[96:99]// 00000000B920: D3D70060 1D824D96
	v_mfma_i32_16x16x32_i8 v[128:131], a[152:153], a[32:33], v[128:131]// 00000000B928: D3D70080 1E024198
	v_mfma_i32_16x16x32_i8 v[128:131], a[154:155], a[34:35], v[128:131]// 00000000B930: D3D70080 1E02459A
	v_mfma_i32_16x16x32_i8 v[128:131], a[156:157], a[36:37], v[128:131]// 00000000B938: D3D70080 1E02499C
	v_mfma_i32_16x16x32_i8 v[128:131], a[158:159], a[38:39], v[128:131]// 00000000B940: D3D70080 1E024D9E
	v_mfma_i32_16x16x32_i8 v[100:103], a[144:145], a[40:41], v[100:103]// 00000000B948: D3D70064 1D925190
	buffer_load_dword v72, s[20:23], 0 offen lds               // 00000000B950: E0511000 80050048
	s_add_u32 m0, 0xb00, s49                                   // 00000000B958: 807C31FF 00000B00
	v_mfma_i32_16x16x32_i8 v[100:103], a[146:147], a[42:43], v[100:103]// 00000000B960: D3D70064 1D925592
	v_mfma_i32_16x16x32_i8 v[100:103], a[148:149], a[44:45], v[100:103]// 00000000B968: D3D70064 1D925994
	buffer_load_dword v73, s[20:23], 0 offen lds               // 00000000B970: E0511000 80050049
	s_add_u32 m0, 0xc00, s49                                   // 00000000B978: 807C31FF 00000C00
	v_mfma_i32_16x16x32_i8 v[100:103], a[150:151], a[46:47], v[100:103]// 00000000B980: D3D70064 1D925D96
	v_mfma_i32_16x16x32_i8 v[132:135], a[152:153], a[40:41], v[132:135]// 00000000B988: D3D70084 1E125198
	buffer_load_dword v74, s[20:23], 0 offen lds               // 00000000B990: E0511000 8005004A
	s_add_u32 m0, 0xd00, s49                                   // 00000000B998: 807C31FF 00000D00
	v_mfma_i32_16x16x32_i8 v[132:135], a[154:155], a[42:43], v[132:135]// 00000000B9A0: D3D70084 1E12559A
	v_mfma_i32_16x16x32_i8 v[132:135], a[156:157], a[44:45], v[132:135]// 00000000B9A8: D3D70084 1E12599C
	buffer_load_dword v75, s[20:23], 0 offen lds               // 00000000B9B0: E0511000 8005004B
	s_add_u32 m0, 0xe00, s49                                   // 00000000B9B8: 807C31FF 00000E00
	v_mfma_i32_16x16x32_i8 v[132:135], a[158:159], a[46:47], v[132:135]// 00000000B9C0: D3D70084 1E125D9E
	v_mfma_i32_16x16x32_i8 v[104:107], a[144:145], a[48:49], v[104:107]// 00000000B9C8: D3D70068 1DA26190
	v_mfma_i32_16x16x32_i8 v[104:107], a[146:147], a[50:51], v[104:107]// 00000000B9D0: D3D70068 1DA26592
	v_mfma_i32_16x16x32_i8 v[104:107], a[148:149], a[52:53], v[104:107]// 00000000B9D8: D3D70068 1DA26994
	v_mfma_i32_16x16x32_i8 v[104:107], a[150:151], a[54:55], v[104:107]// 00000000B9E0: D3D70068 1DA26D96
	v_mfma_i32_16x16x32_i8 v[136:139], a[152:153], a[48:49], v[136:139]// 00000000B9E8: D3D70088 1E226198
	v_mfma_i32_16x16x32_i8 v[136:139], a[154:155], a[50:51], v[136:139]// 00000000B9F0: D3D70088 1E22659A
	v_mfma_i32_16x16x32_i8 v[136:139], a[156:157], a[52:53], v[136:139]// 00000000B9F8: D3D70088 1E22699C
	v_mfma_i32_16x16x32_i8 v[136:139], a[158:159], a[54:55], v[136:139]// 00000000BA00: D3D70088 1E226D9E
	v_mfma_i32_16x16x32_i8 v[108:111], a[144:145], a[56:57], v[108:111]// 00000000BA08: D3D7006C 1DB27190
	buffer_load_dword v76, s[20:23], 0 offen lds               // 00000000BA10: E0511000 8005004C
	s_add_u32 m0, 0xf00, s49                                   // 00000000BA18: 807C31FF 00000F00
	v_mfma_i32_16x16x32_i8 v[108:111], a[146:147], a[58:59], v[108:111]// 00000000BA20: D3D7006C 1DB27592
	v_mfma_i32_16x16x32_i8 v[108:111], a[148:149], a[60:61], v[108:111]// 00000000BA28: D3D7006C 1DB27994
	buffer_load_dword v77, s[20:23], 0 offen lds               // 00000000BA30: E0511000 8005004D
	s_add_u32 m0, 0, s50                                       // 00000000BA38: 807C3280
	v_mfma_i32_16x16x32_i8 v[108:111], a[150:151], a[62:63], v[108:111]// 00000000BA3C: D3D7006C 1DB27D96
	v_mfma_i32_16x16x32_i8 v[140:143], a[152:153], a[56:57], v[140:143]// 00000000BA44: D3D7008C 1E327198
	v_mfma_i32_16x16x32_i8 v[140:143], a[154:155], a[58:59], v[140:143]// 00000000BA4C: D3D7008C 1E32759A
	v_mfma_i32_16x16x32_i8 v[140:143], a[156:157], a[60:61], v[140:143]// 00000000BA54: D3D7008C 1E32799C
	v_mfma_i32_16x16x32_i8 v[140:143], a[158:159], a[62:63], v[140:143]// 00000000BA5C: D3D7008C 1E327D9E
	s_waitcnt vmcnt(20)                                        // 00000000BA64: BF8C4F74
	s_barrier                                                  // 00000000BA68: BF8A0000
	v_mfma_i32_16x16x32_i8 v[144:147], a[160:161], a[0:1], v[144:147]// 00000000BA6C: D3D70090 1E4201A0
	buffer_load_dwordx4 a[144:147], v78, s[84:87], 0 offen     // 00000000BA74: E05C1000 8095904E
	v_mfma_i32_16x16x32_i8 v[144:147], a[162:163], a[2:3], v[144:147]// 00000000BA7C: D3D70090 1E4205A2
	v_mfma_i32_16x16x32_i8 v[144:147], a[164:165], a[4:5], v[144:147]// 00000000BA84: D3D70090 1E4209A4
	ds_read_b128 a[64:67], v2                                  // 00000000BA8C: DBFE0000 40000002
	ds_read_b128 a[68:71], v2 offset:64                        // 00000000BA94: DBFE0040 44000002
	v_mfma_i32_16x16x32_i8 v[144:147], a[166:167], a[6:7], v[144:147]// 00000000BA9C: D3D70090 1E420DA6
	v_mfma_i32_16x16x32_i8 v[176:179], a[168:169], a[0:1], v[176:179]// 00000000BAA4: D3D700B0 1EC201A8
	buffer_load_dwordx4 a[148:151], v78, s[84:87], 0 offen offset:1024// 00000000BAAC: E05C1400 8095944E
	v_mfma_i32_16x16x32_i8 v[176:179], a[170:171], a[2:3], v[176:179]// 00000000BAB4: D3D700B0 1EC205AA
	v_mfma_i32_16x16x32_i8 v[176:179], a[172:173], a[4:5], v[176:179]// 00000000BABC: D3D700B0 1EC209AC
	ds_read_b128 a[72:75], v2 offset:512                       // 00000000BAC4: DBFE0200 48000002
	ds_read_b128 a[76:79], v2 offset:576                       // 00000000BACC: DBFE0240 4C000002
	v_mfma_i32_16x16x32_i8 v[176:179], a[174:175], a[6:7], v[176:179]// 00000000BAD4: D3D700B0 1EC20DAE
	v_mfma_i32_16x16x32_i8 v[148:151], a[160:161], a[8:9], v[148:151]// 00000000BADC: D3D70094 1E5211A0
	buffer_load_dwordx4 a[152:155], v79, s[84:87], 0 offen     // 00000000BAE4: E05C1000 8095984F
	v_mfma_i32_16x16x32_i8 v[148:151], a[162:163], a[10:11], v[148:151]// 00000000BAEC: D3D70094 1E5215A2
	v_mfma_i32_16x16x32_i8 v[148:151], a[164:165], a[12:13], v[148:151]// 00000000BAF4: D3D70094 1E5219A4
	ds_read_b128 a[80:83], v2 offset:1024                      // 00000000BAFC: DBFE0400 50000002
	ds_read_b128 a[84:87], v2 offset:1088                      // 00000000BB04: DBFE0440 54000002
	v_mfma_i32_16x16x32_i8 v[148:151], a[166:167], a[14:15], v[148:151]// 00000000BB0C: D3D70094 1E521DA6
	v_mfma_i32_16x16x32_i8 v[180:183], a[168:169], a[8:9], v[180:183]// 00000000BB14: D3D700B4 1ED211A8
	buffer_load_dwordx4 a[156:159], v79, s[84:87], 0 offen offset:1024// 00000000BB1C: E05C1400 80959C4F
	v_mfma_i32_16x16x32_i8 v[180:183], a[170:171], a[10:11], v[180:183]// 00000000BB24: D3D700B4 1ED215AA
	v_mfma_i32_16x16x32_i8 v[180:183], a[172:173], a[12:13], v[180:183]// 00000000BB2C: D3D700B4 1ED219AC
	ds_read_b128 a[88:91], v2 offset:1536                      // 00000000BB34: DBFE0600 58000002
	ds_read_b128 a[92:95], v2 offset:1600                      // 00000000BB3C: DBFE0640 5C000002
	v_mfma_i32_16x16x32_i8 v[180:183], a[174:175], a[14:15], v[180:183]// 00000000BB44: D3D700B4 1ED21DAE
	v_mfma_i32_16x16x32_i8 v[152:155], a[160:161], a[16:17], v[152:155]// 00000000BB4C: D3D70098 1E6221A0
	v_mfma_i32_16x16x32_i8 v[152:155], a[162:163], a[18:19], v[152:155]// 00000000BB54: D3D70098 1E6225A2
	v_mfma_i32_16x16x32_i8 v[152:155], a[164:165], a[20:21], v[152:155]// 00000000BB5C: D3D70098 1E6229A4
	ds_read_b128 a[96:99], v2 offset:2048                      // 00000000BB64: DBFE0800 60000002
	ds_read_b128 a[100:103], v2 offset:2112                    // 00000000BB6C: DBFE0840 64000002
	v_mfma_i32_16x16x32_i8 v[152:155], a[166:167], a[22:23], v[152:155]// 00000000BB74: D3D70098 1E622DA6
	v_mfma_i32_16x16x32_i8 v[184:187], a[168:169], a[16:17], v[184:187]// 00000000BB7C: D3D700B8 1EE221A8
	v_mfma_i32_16x16x32_i8 v[184:187], a[170:171], a[18:19], v[184:187]// 00000000BB84: D3D700B8 1EE225AA
	v_mfma_i32_16x16x32_i8 v[184:187], a[172:173], a[20:21], v[184:187]// 00000000BB8C: D3D700B8 1EE229AC
	ds_read_b128 a[104:107], v2 offset:2560                    // 00000000BB94: DBFE0A00 68000002
	ds_read_b128 a[108:111], v2 offset:2624                    // 00000000BB9C: DBFE0A40 6C000002
	v_mfma_i32_16x16x32_i8 v[184:187], a[174:175], a[22:23], v[184:187]// 00000000BBA4: D3D700B8 1EE22DAE
	v_mfma_i32_16x16x32_i8 v[156:159], a[160:161], a[24:25], v[156:159]// 00000000BBAC: D3D7009C 1E7231A0
	v_mfma_i32_16x16x32_i8 v[156:159], a[162:163], a[26:27], v[156:159]// 00000000BBB4: D3D7009C 1E7235A2
	v_mfma_i32_16x16x32_i8 v[156:159], a[164:165], a[28:29], v[156:159]// 00000000BBBC: D3D7009C 1E7239A4
	ds_read_b128 a[112:115], v2 offset:3072                    // 00000000BBC4: DBFE0C00 70000002
	ds_read_b128 a[116:119], v2 offset:3136                    // 00000000BBCC: DBFE0C40 74000002
	v_mfma_i32_16x16x32_i8 v[156:159], a[166:167], a[30:31], v[156:159]// 00000000BBD4: D3D7009C 1E723DA6
	v_mfma_i32_16x16x32_i8 v[188:191], a[168:169], a[24:25], v[188:191]// 00000000BBDC: D3D700BC 1EF231A8
	v_mfma_i32_16x16x32_i8 v[188:191], a[170:171], a[26:27], v[188:191]// 00000000BBE4: D3D700BC 1EF235AA
	v_mfma_i32_16x16x32_i8 v[188:191], a[172:173], a[28:29], v[188:191]// 00000000BBEC: D3D700BC 1EF239AC
	ds_read_b128 a[120:123], v2 offset:3584                    // 00000000BBF4: DBFE0E00 78000002
	ds_read_b128 a[124:127], v2 offset:3648                    // 00000000BBFC: DBFE0E40 7C000002
	v_mfma_i32_16x16x32_i8 v[188:191], a[174:175], a[30:31], v[188:191]// 00000000BC04: D3D700BC 1EF23DAE
	v_mfma_i32_16x16x32_i8 v[160:163], a[160:161], a[32:33], v[160:163]// 00000000BC0C: D3D700A0 1E8241A0
	v_mfma_i32_16x16x32_i8 v[160:163], a[162:163], a[34:35], v[160:163]// 00000000BC14: D3D700A0 1E8245A2
	v_mfma_i32_16x16x32_i8 v[160:163], a[164:165], a[36:37], v[160:163]// 00000000BC1C: D3D700A0 1E8249A4
	v_mfma_i32_16x16x32_i8 v[160:163], a[166:167], a[38:39], v[160:163]// 00000000BC24: D3D700A0 1E824DA6
	v_mfma_i32_16x16x32_i8 v[192:195], a[168:169], a[32:33], v[192:195]// 00000000BC2C: D3D700C0 1F0241A8
	v_mfma_i32_16x16x32_i8 v[192:195], a[170:171], a[34:35], v[192:195]// 00000000BC34: D3D700C0 1F0245AA
	v_mfma_i32_16x16x32_i8 v[192:195], a[172:173], a[36:37], v[192:195]// 00000000BC3C: D3D700C0 1F0249AC
	v_mfma_i32_16x16x32_i8 v[192:195], a[174:175], a[38:39], v[192:195]// 00000000BC44: D3D700C0 1F024DAE
	v_mfma_i32_16x16x32_i8 v[164:167], a[160:161], a[40:41], v[164:167]// 00000000BC4C: D3D700A4 1E9251A0
	v_mfma_i32_16x16x32_i8 v[164:167], a[162:163], a[42:43], v[164:167]// 00000000BC54: D3D700A4 1E9255A2
	v_mfma_i32_16x16x32_i8 v[164:167], a[164:165], a[44:45], v[164:167]// 00000000BC5C: D3D700A4 1E9259A4
	v_mfma_i32_16x16x32_i8 v[164:167], a[166:167], a[46:47], v[164:167]// 00000000BC64: D3D700A4 1E925DA6
	v_mfma_i32_16x16x32_i8 v[196:199], a[168:169], a[40:41], v[196:199]// 00000000BC6C: D3D700C4 1F1251A8
	v_mfma_i32_16x16x32_i8 v[196:199], a[170:171], a[42:43], v[196:199]// 00000000BC74: D3D700C4 1F1255AA
	v_mfma_i32_16x16x32_i8 v[196:199], a[172:173], a[44:45], v[196:199]// 00000000BC7C: D3D700C4 1F1259AC
	v_mfma_i32_16x16x32_i8 v[196:199], a[174:175], a[46:47], v[196:199]// 00000000BC84: D3D700C4 1F125DAE
	v_mfma_i32_16x16x32_i8 v[168:171], a[160:161], a[48:49], v[168:171]// 00000000BC8C: D3D700A8 1EA261A0
	v_mfma_i32_16x16x32_i8 v[168:171], a[162:163], a[50:51], v[168:171]// 00000000BC94: D3D700A8 1EA265A2
	v_mfma_i32_16x16x32_i8 v[168:171], a[164:165], a[52:53], v[168:171]// 00000000BC9C: D3D700A8 1EA269A4
	v_mfma_i32_16x16x32_i8 v[168:171], a[166:167], a[54:55], v[168:171]// 00000000BCA4: D3D700A8 1EA26DA6
	v_mfma_i32_16x16x32_i8 v[200:203], a[168:169], a[48:49], v[200:203]// 00000000BCAC: D3D700C8 1F2261A8
	v_mfma_i32_16x16x32_i8 v[200:203], a[170:171], a[50:51], v[200:203]// 00000000BCB4: D3D700C8 1F2265AA
	v_mfma_i32_16x16x32_i8 v[200:203], a[172:173], a[52:53], v[200:203]// 00000000BCBC: D3D700C8 1F2269AC
	v_mfma_i32_16x16x32_i8 v[200:203], a[174:175], a[54:55], v[200:203]// 00000000BCC4: D3D700C8 1F226DAE
	v_mfma_i32_16x16x32_i8 v[172:175], a[160:161], a[56:57], v[172:175]// 00000000BCCC: D3D700AC 1EB271A0
	s_add_u32 s60, 0x180, s80                                  // 00000000BCD4: 803C50FF 00000180
	s_cmp_lt_u32 s60, s81                                      // 00000000BCDC: BF0A513C
	s_cselect_b32 s57, s57, 0                                  // 00000000BCE0: 85398039
	v_mfma_i32_16x16x32_i8 v[172:175], a[162:163], a[58:59], v[172:175]// 00000000BCE4: D3D700AC 1EB275A2
	s_add_u32 s60, 0x100, s80                                  // 00000000BCEC: 803C50FF 00000100
	s_cmp_lt_u32 s60, s81                                      // 00000000BCF4: BF0A513C
	s_cselect_b32 s58, s58, 0                                  // 00000000BCF8: 853A803A
	v_mfma_i32_16x16x32_i8 v[172:175], a[164:165], a[60:61], v[172:175]// 00000000BCFC: D3D700AC 1EB279A4
	s_add_u32 s60, 0x100, s80                                  // 00000000BD04: 803C50FF 00000100
	s_cmp_lt_u32 s60, s81                                      // 00000000BD0C: BF0A513C
	s_cselect_b32 s83, s83, 0                                  // 00000000BD10: 85538053
	v_mfma_i32_16x16x32_i8 v[172:175], a[166:167], a[62:63], v[172:175]// 00000000BD14: D3D700AC 1EB27DA6
	s_add_u32 s24, s58, s24                                    // 00000000BD1C: 8018183A
	s_addc_u32 s25, 0, s25                                     // 00000000BD20: 82191980
	v_mfma_i32_16x16x32_i8 v[204:207], a[168:169], a[56:57], v[204:207]// 00000000BD24: D3D700CC 1F3271A8
	s_add_u32 s20, s57, s20                                    // 00000000BD2C: 80141439
	s_addc_u32 s21, 0, s21                                     // 00000000BD30: 82151580
	v_mfma_i32_16x16x32_i8 v[204:207], a[170:171], a[58:59], v[204:207]// 00000000BD34: D3D700CC 1F3275AA
	s_add_u32 s84, s83, s84                                    // 00000000BD3C: 80545453
	s_addc_u32 s85, 0, s85                                     // 00000000BD40: 82555580
	v_mfma_i32_16x16x32_i8 v[204:207], a[172:173], a[60:61], v[204:207]// 00000000BD44: D3D700CC 1F3279AC
	v_mfma_i32_16x16x32_i8 v[204:207], a[174:175], a[62:63], v[204:207]// 00000000BD4C: D3D700CC 1F327DAE
	s_addk_i32 s80, 0x80                                       // 00000000BD54: B7500080
	s_cmp_lt_i32 s80, s81                                      // 00000000BD58: BF045150
	s_cbranch_scc0 label_2971                                  // 00000000BD5C: BF840496
	s_waitcnt vmcnt(20) lgkmcnt(0)                             // 00000000BD60: BF8C4074
	v_mfma_i32_16x16x32_i8 v[80:83], a[128:129], a[64:65], v[80:83]// 00000000BD64: D3D70050 1D428180
	buffer_load_dwordx4 a[160:163], v78, s[24:27], 0 offen     // 00000000BD6C: E05C1000 8086A04E
	v_mfma_i32_16x16x32_i8 v[80:83], a[130:131], a[66:67], v[80:83]// 00000000BD74: D3D70050 1D428582
	v_mfma_i32_16x16x32_i8 v[80:83], a[132:133], a[68:69], v[80:83]// 00000000BD7C: D3D70050 1D428984
	v_mfma_i32_16x16x32_i8 v[80:83], a[134:135], a[70:71], v[80:83]// 00000000BD84: D3D70050 1D428D86
	v_mfma_i32_16x16x32_i8 v[112:115], a[136:137], a[64:65], v[112:115]// 00000000BD8C: D3D70070 1DC28188
	buffer_load_dwordx4 a[164:167], v78, s[24:27], 0 offen offset:1024// 00000000BD94: E05C1400 8086A44E
	v_mfma_i32_16x16x32_i8 v[112:115], a[138:139], a[66:67], v[112:115]// 00000000BD9C: D3D70070 1DC2858A
	v_mfma_i32_16x16x32_i8 v[112:115], a[140:141], a[68:69], v[112:115]// 00000000BDA4: D3D70070 1DC2898C
	v_mfma_i32_16x16x32_i8 v[112:115], a[142:143], a[70:71], v[112:115]// 00000000BDAC: D3D70070 1DC28D8E
	v_mfma_i32_16x16x32_i8 v[84:87], a[128:129], a[72:73], v[84:87]// 00000000BDB4: D3D70054 1D529180
	buffer_load_dwordx4 a[168:171], v79, s[24:27], 0 offen     // 00000000BDBC: E05C1000 8086A84F
	v_mfma_i32_16x16x32_i8 v[84:87], a[130:131], a[74:75], v[84:87]// 00000000BDC4: D3D70054 1D529582
	v_mfma_i32_16x16x32_i8 v[84:87], a[132:133], a[76:77], v[84:87]// 00000000BDCC: D3D70054 1D529984
	v_mfma_i32_16x16x32_i8 v[84:87], a[134:135], a[78:79], v[84:87]// 00000000BDD4: D3D70054 1D529D86
	v_mfma_i32_16x16x32_i8 v[116:119], a[136:137], a[72:73], v[116:119]// 00000000BDDC: D3D70074 1DD29188
	buffer_load_dwordx4 a[172:175], v79, s[24:27], 0 offen offset:1024// 00000000BDE4: E05C1400 8086AC4F
	buffer_load_dword v62, s[20:23], 0 offen lds               // 00000000BDEC: E0511000 8005003E
	s_add_u32 m0, 0x100, s50                                   // 00000000BDF4: 807C32FF 00000100
	v_mfma_i32_16x16x32_i8 v[116:119], a[138:139], a[74:75], v[116:119]// 00000000BDFC: D3D70074 1DD2958A
	v_mfma_i32_16x16x32_i8 v[116:119], a[140:141], a[76:77], v[116:119]// 00000000BE04: D3D70074 1DD2998C
	buffer_load_dword v63, s[20:23], 0 offen lds               // 00000000BE0C: E0511000 8005003F
	s_add_u32 m0, 0x200, s50                                   // 00000000BE14: 807C32FF 00000200
	v_mfma_i32_16x16x32_i8 v[116:119], a[142:143], a[78:79], v[116:119]// 00000000BE1C: D3D70074 1DD29D8E
	v_mfma_i32_16x16x32_i8 v[88:91], a[128:129], a[80:81], v[88:91]// 00000000BE24: D3D70058 1D62A180
	buffer_load_dword v64, s[20:23], 0 offen lds               // 00000000BE2C: E0511000 80050040
	s_add_u32 m0, 0x300, s50                                   // 00000000BE34: 807C32FF 00000300
	v_mfma_i32_16x16x32_i8 v[88:91], a[130:131], a[82:83], v[88:91]// 00000000BE3C: D3D70058 1D62A582
	v_mfma_i32_16x16x32_i8 v[88:91], a[132:133], a[84:85], v[88:91]// 00000000BE44: D3D70058 1D62A984
	buffer_load_dword v65, s[20:23], 0 offen lds               // 00000000BE4C: E0511000 80050041
	s_add_u32 m0, 0x400, s50                                   // 00000000BE54: 807C32FF 00000400
	v_mfma_i32_16x16x32_i8 v[88:91], a[134:135], a[86:87], v[88:91]// 00000000BE5C: D3D70058 1D62AD86
	v_mfma_i32_16x16x32_i8 v[120:123], a[136:137], a[80:81], v[120:123]// 00000000BE64: D3D70078 1DE2A188
	buffer_load_dword v66, s[20:23], 0 offen lds               // 00000000BE6C: E0511000 80050042
	s_add_u32 m0, 0x500, s50                                   // 00000000BE74: 807C32FF 00000500
	v_mfma_i32_16x16x32_i8 v[120:123], a[138:139], a[82:83], v[120:123]// 00000000BE7C: D3D70078 1DE2A58A
	v_mfma_i32_16x16x32_i8 v[120:123], a[140:141], a[84:85], v[120:123]// 00000000BE84: D3D70078 1DE2A98C
	buffer_load_dword v67, s[20:23], 0 offen lds               // 00000000BE8C: E0511000 80050043
	s_add_u32 m0, 0x600, s50                                   // 00000000BE94: 807C32FF 00000600
	v_mfma_i32_16x16x32_i8 v[120:123], a[142:143], a[86:87], v[120:123]// 00000000BE9C: D3D70078 1DE2AD8E
	v_mfma_i32_16x16x32_i8 v[92:95], a[128:129], a[88:89], v[92:95]// 00000000BEA4: D3D7005C 1D72B180
	buffer_load_dword v68, s[20:23], 0 offen lds               // 00000000BEAC: E0511000 80050044
	s_add_u32 m0, 0x700, s50                                   // 00000000BEB4: 807C32FF 00000700
	v_mfma_i32_16x16x32_i8 v[92:95], a[130:131], a[90:91], v[92:95]// 00000000BEBC: D3D7005C 1D72B582
	v_mfma_i32_16x16x32_i8 v[92:95], a[132:133], a[92:93], v[92:95]// 00000000BEC4: D3D7005C 1D72B984
	buffer_load_dword v69, s[20:23], 0 offen lds               // 00000000BECC: E0511000 80050045
	s_add_u32 m0, 0x800, s50                                   // 00000000BED4: 807C32FF 00000800
	v_mfma_i32_16x16x32_i8 v[92:95], a[134:135], a[94:95], v[92:95]// 00000000BEDC: D3D7005C 1D72BD86
	v_mfma_i32_16x16x32_i8 v[124:127], a[136:137], a[88:89], v[124:127]// 00000000BEE4: D3D7007C 1DF2B188
	buffer_load_dword v70, s[20:23], 0 offen lds               // 00000000BEEC: E0511000 80050046
	s_add_u32 m0, 0x900, s50                                   // 00000000BEF4: 807C32FF 00000900
	v_mfma_i32_16x16x32_i8 v[124:127], a[138:139], a[90:91], v[124:127]// 00000000BEFC: D3D7007C 1DF2B58A
	v_mfma_i32_16x16x32_i8 v[124:127], a[140:141], a[92:93], v[124:127]// 00000000BF04: D3D7007C 1DF2B98C
	buffer_load_dword v71, s[20:23], 0 offen lds               // 00000000BF0C: E0511000 80050047
	s_add_u32 m0, 0xa00, s50                                   // 00000000BF14: 807C32FF 00000A00
	v_mfma_i32_16x16x32_i8 v[124:127], a[142:143], a[94:95], v[124:127]// 00000000BF1C: D3D7007C 1DF2BD8E
	v_mfma_i32_16x16x32_i8 v[96:99], a[128:129], a[96:97], v[96:99]// 00000000BF24: D3D70060 1D82C180
	v_mfma_i32_16x16x32_i8 v[96:99], a[130:131], a[98:99], v[96:99]// 00000000BF2C: D3D70060 1D82C582
	v_mfma_i32_16x16x32_i8 v[96:99], a[132:133], a[100:101], v[96:99]// 00000000BF34: D3D70060 1D82C984
	v_mfma_i32_16x16x32_i8 v[96:99], a[134:135], a[102:103], v[96:99]// 00000000BF3C: D3D70060 1D82CD86
	v_mfma_i32_16x16x32_i8 v[128:131], a[136:137], a[96:97], v[128:131]// 00000000BF44: D3D70080 1E02C188
	v_mfma_i32_16x16x32_i8 v[128:131], a[138:139], a[98:99], v[128:131]// 00000000BF4C: D3D70080 1E02C58A
	v_mfma_i32_16x16x32_i8 v[128:131], a[140:141], a[100:101], v[128:131]// 00000000BF54: D3D70080 1E02C98C
	v_mfma_i32_16x16x32_i8 v[128:131], a[142:143], a[102:103], v[128:131]// 00000000BF5C: D3D70080 1E02CD8E
	v_mfma_i32_16x16x32_i8 v[100:103], a[128:129], a[104:105], v[100:103]// 00000000BF64: D3D70064 1D92D180
	buffer_load_dword v72, s[20:23], 0 offen lds               // 00000000BF6C: E0511000 80050048
	s_add_u32 m0, 0xb00, s50                                   // 00000000BF74: 807C32FF 00000B00
	v_mfma_i32_16x16x32_i8 v[100:103], a[130:131], a[106:107], v[100:103]// 00000000BF7C: D3D70064 1D92D582
	v_mfma_i32_16x16x32_i8 v[100:103], a[132:133], a[108:109], v[100:103]// 00000000BF84: D3D70064 1D92D984
	buffer_load_dword v73, s[20:23], 0 offen lds               // 00000000BF8C: E0511000 80050049
	s_add_u32 m0, 0xc00, s50                                   // 00000000BF94: 807C32FF 00000C00
	v_mfma_i32_16x16x32_i8 v[100:103], a[134:135], a[110:111], v[100:103]// 00000000BF9C: D3D70064 1D92DD86
	v_mfma_i32_16x16x32_i8 v[132:135], a[136:137], a[104:105], v[132:135]// 00000000BFA4: D3D70084 1E12D188
	buffer_load_dword v74, s[20:23], 0 offen lds               // 00000000BFAC: E0511000 8005004A
	s_add_u32 m0, 0xd00, s50                                   // 00000000BFB4: 807C32FF 00000D00
	v_mfma_i32_16x16x32_i8 v[132:135], a[138:139], a[106:107], v[132:135]// 00000000BFBC: D3D70084 1E12D58A
	v_mfma_i32_16x16x32_i8 v[132:135], a[140:141], a[108:109], v[132:135]// 00000000BFC4: D3D70084 1E12D98C
	buffer_load_dword v75, s[20:23], 0 offen lds               // 00000000BFCC: E0511000 8005004B
	s_add_u32 m0, 0xe00, s50                                   // 00000000BFD4: 807C32FF 00000E00
	v_mfma_i32_16x16x32_i8 v[132:135], a[142:143], a[110:111], v[132:135]// 00000000BFDC: D3D70084 1E12DD8E
	v_mfma_i32_16x16x32_i8 v[104:107], a[128:129], a[112:113], v[104:107]// 00000000BFE4: D3D70068 1DA2E180
	v_mfma_i32_16x16x32_i8 v[104:107], a[130:131], a[114:115], v[104:107]// 00000000BFEC: D3D70068 1DA2E582
	v_mfma_i32_16x16x32_i8 v[104:107], a[132:133], a[116:117], v[104:107]// 00000000BFF4: D3D70068 1DA2E984
	v_mfma_i32_16x16x32_i8 v[104:107], a[134:135], a[118:119], v[104:107]// 00000000BFFC: D3D70068 1DA2ED86
	v_mfma_i32_16x16x32_i8 v[136:139], a[136:137], a[112:113], v[136:139]// 00000000C004: D3D70088 1E22E188
	v_mfma_i32_16x16x32_i8 v[136:139], a[138:139], a[114:115], v[136:139]// 00000000C00C: D3D70088 1E22E58A
	v_mfma_i32_16x16x32_i8 v[136:139], a[140:141], a[116:117], v[136:139]// 00000000C014: D3D70088 1E22E98C
	v_mfma_i32_16x16x32_i8 v[136:139], a[142:143], a[118:119], v[136:139]// 00000000C01C: D3D70088 1E22ED8E
	v_mfma_i32_16x16x32_i8 v[108:111], a[128:129], a[120:121], v[108:111]// 00000000C024: D3D7006C 1DB2F180
	buffer_load_dword v76, s[20:23], 0 offen lds               // 00000000C02C: E0511000 8005004C
	s_add_u32 m0, 0xf00, s50                                   // 00000000C034: 807C32FF 00000F00
	v_mfma_i32_16x16x32_i8 v[108:111], a[130:131], a[122:123], v[108:111]// 00000000C03C: D3D7006C 1DB2F582
	v_mfma_i32_16x16x32_i8 v[108:111], a[132:133], a[124:125], v[108:111]// 00000000C044: D3D7006C 1DB2F984
	buffer_load_dword v77, s[20:23], 0 offen lds               // 00000000C04C: E0511000 8005004D
	s_add_u32 m0, 0, s48                                       // 00000000C054: 807C3080
	v_mfma_i32_16x16x32_i8 v[108:111], a[134:135], a[126:127], v[108:111]// 00000000C058: D3D7006C 1DB2FD86
	v_mfma_i32_16x16x32_i8 v[140:143], a[136:137], a[120:121], v[140:143]// 00000000C060: D3D7008C 1E32F188
	v_mfma_i32_16x16x32_i8 v[140:143], a[138:139], a[122:123], v[140:143]// 00000000C068: D3D7008C 1E32F58A
	v_mfma_i32_16x16x32_i8 v[140:143], a[140:141], a[124:125], v[140:143]// 00000000C070: D3D7008C 1E32F98C
	v_mfma_i32_16x16x32_i8 v[140:143], a[142:143], a[126:127], v[140:143]// 00000000C078: D3D7008C 1E32FD8E
	s_waitcnt vmcnt(20)                                        // 00000000C080: BF8C4F74
	s_barrier                                                  // 00000000C084: BF8A0000
	v_mfma_i32_16x16x32_i8 v[144:147], a[144:145], a[64:65], v[144:147]// 00000000C088: D3D70090 1E428190
	buffer_load_dwordx4 a[128:131], v78, s[84:87], 0 offen     // 00000000C090: E05C1000 8095804E
	v_mfma_i32_16x16x32_i8 v[144:147], a[146:147], a[66:67], v[144:147]// 00000000C098: D3D70090 1E428592
	v_mfma_i32_16x16x32_i8 v[144:147], a[148:149], a[68:69], v[144:147]// 00000000C0A0: D3D70090 1E428994
	ds_read_b128 a[0:3], v2 offset:16512                       // 00000000C0A8: DBFE4080 00000002
	ds_read_b128 a[4:7], v2 offset:16576                       // 00000000C0B0: DBFE40C0 04000002
	v_mfma_i32_16x16x32_i8 v[144:147], a[150:151], a[70:71], v[144:147]// 00000000C0B8: D3D70090 1E428D96
	v_mfma_i32_16x16x32_i8 v[176:179], a[152:153], a[64:65], v[176:179]// 00000000C0C0: D3D700B0 1EC28198
	buffer_load_dwordx4 a[132:135], v78, s[84:87], 0 offen offset:1024// 00000000C0C8: E05C1400 8095844E
	v_mfma_i32_16x16x32_i8 v[176:179], a[154:155], a[66:67], v[176:179]// 00000000C0D0: D3D700B0 1EC2859A
	v_mfma_i32_16x16x32_i8 v[176:179], a[156:157], a[68:69], v[176:179]// 00000000C0D8: D3D700B0 1EC2899C
	ds_read_b128 a[8:11], v2 offset:17024                      // 00000000C0E0: DBFE4280 08000002
	ds_read_b128 a[12:15], v2 offset:17088                     // 00000000C0E8: DBFE42C0 0C000002
	v_mfma_i32_16x16x32_i8 v[176:179], a[158:159], a[70:71], v[176:179]// 00000000C0F0: D3D700B0 1EC28D9E
	v_mfma_i32_16x16x32_i8 v[148:151], a[144:145], a[72:73], v[148:151]// 00000000C0F8: D3D70094 1E529190
	buffer_load_dwordx4 a[136:139], v79, s[84:87], 0 offen     // 00000000C100: E05C1000 8095884F
	v_mfma_i32_16x16x32_i8 v[148:151], a[146:147], a[74:75], v[148:151]// 00000000C108: D3D70094 1E529592
	v_mfma_i32_16x16x32_i8 v[148:151], a[148:149], a[76:77], v[148:151]// 00000000C110: D3D70094 1E529994
	ds_read_b128 a[16:19], v2 offset:17536                     // 00000000C118: DBFE4480 10000002
	ds_read_b128 a[20:23], v2 offset:17600                     // 00000000C120: DBFE44C0 14000002
	v_mfma_i32_16x16x32_i8 v[148:151], a[150:151], a[78:79], v[148:151]// 00000000C128: D3D70094 1E529D96
	v_mfma_i32_16x16x32_i8 v[180:183], a[152:153], a[72:73], v[180:183]// 00000000C130: D3D700B4 1ED29198
	buffer_load_dwordx4 a[140:143], v79, s[84:87], 0 offen offset:1024// 00000000C138: E05C1400 80958C4F
	v_mfma_i32_16x16x32_i8 v[180:183], a[154:155], a[74:75], v[180:183]// 00000000C140: D3D700B4 1ED2959A
	v_mfma_i32_16x16x32_i8 v[180:183], a[156:157], a[76:77], v[180:183]// 00000000C148: D3D700B4 1ED2999C
	ds_read_b128 a[24:27], v2 offset:18048                     // 00000000C150: DBFE4680 18000002
	ds_read_b128 a[28:31], v2 offset:18112                     // 00000000C158: DBFE46C0 1C000002
	v_mfma_i32_16x16x32_i8 v[180:183], a[158:159], a[78:79], v[180:183]// 00000000C160: D3D700B4 1ED29D9E
	v_mfma_i32_16x16x32_i8 v[152:155], a[144:145], a[80:81], v[152:155]// 00000000C168: D3D70098 1E62A190
	v_mfma_i32_16x16x32_i8 v[152:155], a[146:147], a[82:83], v[152:155]// 00000000C170: D3D70098 1E62A592
	v_mfma_i32_16x16x32_i8 v[152:155], a[148:149], a[84:85], v[152:155]// 00000000C178: D3D70098 1E62A994
	ds_read_b128 a[32:35], v2 offset:18560                     // 00000000C180: DBFE4880 20000002
	ds_read_b128 a[36:39], v2 offset:18624                     // 00000000C188: DBFE48C0 24000002
	v_mfma_i32_16x16x32_i8 v[152:155], a[150:151], a[86:87], v[152:155]// 00000000C190: D3D70098 1E62AD96
	v_mfma_i32_16x16x32_i8 v[184:187], a[152:153], a[80:81], v[184:187]// 00000000C198: D3D700B8 1EE2A198
	v_mfma_i32_16x16x32_i8 v[184:187], a[154:155], a[82:83], v[184:187]// 00000000C1A0: D3D700B8 1EE2A59A
	v_mfma_i32_16x16x32_i8 v[184:187], a[156:157], a[84:85], v[184:187]// 00000000C1A8: D3D700B8 1EE2A99C
	ds_read_b128 a[40:43], v2 offset:19072                     // 00000000C1B0: DBFE4A80 28000002
	ds_read_b128 a[44:47], v2 offset:19136                     // 00000000C1B8: DBFE4AC0 2C000002
	v_mfma_i32_16x16x32_i8 v[184:187], a[158:159], a[86:87], v[184:187]// 00000000C1C0: D3D700B8 1EE2AD9E
	v_mfma_i32_16x16x32_i8 v[156:159], a[144:145], a[88:89], v[156:159]// 00000000C1C8: D3D7009C 1E72B190
	v_mfma_i32_16x16x32_i8 v[156:159], a[146:147], a[90:91], v[156:159]// 00000000C1D0: D3D7009C 1E72B592
	v_mfma_i32_16x16x32_i8 v[156:159], a[148:149], a[92:93], v[156:159]// 00000000C1D8: D3D7009C 1E72B994
	ds_read_b128 a[48:51], v2 offset:19584                     // 00000000C1E0: DBFE4C80 30000002
	ds_read_b128 a[52:55], v2 offset:19648                     // 00000000C1E8: DBFE4CC0 34000002
	v_mfma_i32_16x16x32_i8 v[156:159], a[150:151], a[94:95], v[156:159]// 00000000C1F0: D3D7009C 1E72BD96
	v_mfma_i32_16x16x32_i8 v[188:191], a[152:153], a[88:89], v[188:191]// 00000000C1F8: D3D700BC 1EF2B198
	v_mfma_i32_16x16x32_i8 v[188:191], a[154:155], a[90:91], v[188:191]// 00000000C200: D3D700BC 1EF2B59A
	v_mfma_i32_16x16x32_i8 v[188:191], a[156:157], a[92:93], v[188:191]// 00000000C208: D3D700BC 1EF2B99C
	ds_read_b128 a[56:59], v2 offset:20096                     // 00000000C210: DBFE4E80 38000002
	ds_read_b128 a[60:63], v2 offset:20160                     // 00000000C218: DBFE4EC0 3C000002
	v_mfma_i32_16x16x32_i8 v[188:191], a[158:159], a[94:95], v[188:191]// 00000000C220: D3D700BC 1EF2BD9E
	v_mfma_i32_16x16x32_i8 v[160:163], a[144:145], a[96:97], v[160:163]// 00000000C228: D3D700A0 1E82C190
	v_mfma_i32_16x16x32_i8 v[160:163], a[146:147], a[98:99], v[160:163]// 00000000C230: D3D700A0 1E82C592
	v_mfma_i32_16x16x32_i8 v[160:163], a[148:149], a[100:101], v[160:163]// 00000000C238: D3D700A0 1E82C994
	v_mfma_i32_16x16x32_i8 v[160:163], a[150:151], a[102:103], v[160:163]// 00000000C240: D3D700A0 1E82CD96
	v_mfma_i32_16x16x32_i8 v[192:195], a[152:153], a[96:97], v[192:195]// 00000000C248: D3D700C0 1F02C198
	v_mfma_i32_16x16x32_i8 v[192:195], a[154:155], a[98:99], v[192:195]// 00000000C250: D3D700C0 1F02C59A
	v_mfma_i32_16x16x32_i8 v[192:195], a[156:157], a[100:101], v[192:195]// 00000000C258: D3D700C0 1F02C99C
	v_mfma_i32_16x16x32_i8 v[192:195], a[158:159], a[102:103], v[192:195]// 00000000C260: D3D700C0 1F02CD9E
	v_mfma_i32_16x16x32_i8 v[164:167], a[144:145], a[104:105], v[164:167]// 00000000C268: D3D700A4 1E92D190
	v_mfma_i32_16x16x32_i8 v[164:167], a[146:147], a[106:107], v[164:167]// 00000000C270: D3D700A4 1E92D592
	v_mfma_i32_16x16x32_i8 v[164:167], a[148:149], a[108:109], v[164:167]// 00000000C278: D3D700A4 1E92D994
	v_mfma_i32_16x16x32_i8 v[164:167], a[150:151], a[110:111], v[164:167]// 00000000C280: D3D700A4 1E92DD96
	v_mfma_i32_16x16x32_i8 v[196:199], a[152:153], a[104:105], v[196:199]// 00000000C288: D3D700C4 1F12D198
	v_mfma_i32_16x16x32_i8 v[196:199], a[154:155], a[106:107], v[196:199]// 00000000C290: D3D700C4 1F12D59A
	v_mfma_i32_16x16x32_i8 v[196:199], a[156:157], a[108:109], v[196:199]// 00000000C298: D3D700C4 1F12D99C
	v_mfma_i32_16x16x32_i8 v[196:199], a[158:159], a[110:111], v[196:199]// 00000000C2A0: D3D700C4 1F12DD9E
	v_mfma_i32_16x16x32_i8 v[168:171], a[144:145], a[112:113], v[168:171]// 00000000C2A8: D3D700A8 1EA2E190
	v_mfma_i32_16x16x32_i8 v[168:171], a[146:147], a[114:115], v[168:171]// 00000000C2B0: D3D700A8 1EA2E592
	v_mfma_i32_16x16x32_i8 v[168:171], a[148:149], a[116:117], v[168:171]// 00000000C2B8: D3D700A8 1EA2E994
	v_mfma_i32_16x16x32_i8 v[168:171], a[150:151], a[118:119], v[168:171]// 00000000C2C0: D3D700A8 1EA2ED96
	v_mfma_i32_16x16x32_i8 v[200:203], a[152:153], a[112:113], v[200:203]// 00000000C2C8: D3D700C8 1F22E198
	v_mfma_i32_16x16x32_i8 v[200:203], a[154:155], a[114:115], v[200:203]// 00000000C2D0: D3D700C8 1F22E59A
	v_mfma_i32_16x16x32_i8 v[200:203], a[156:157], a[116:117], v[200:203]// 00000000C2D8: D3D700C8 1F22E99C
	v_mfma_i32_16x16x32_i8 v[200:203], a[158:159], a[118:119], v[200:203]// 00000000C2E0: D3D700C8 1F22ED9E
	v_mfma_i32_16x16x32_i8 v[172:175], a[144:145], a[120:121], v[172:175]// 00000000C2E8: D3D700AC 1EB2F190
	s_add_u32 s60, 0x180, s80                                  // 00000000C2F0: 803C50FF 00000180
	s_cmp_lt_u32 s60, s81                                      // 00000000C2F8: BF0A513C
	s_cselect_b32 s57, s57, 0                                  // 00000000C2FC: 85398039
	v_mfma_i32_16x16x32_i8 v[172:175], a[146:147], a[122:123], v[172:175]// 00000000C300: D3D700AC 1EB2F592
	s_add_u32 s60, 0x100, s80                                  // 00000000C308: 803C50FF 00000100
	s_cmp_lt_u32 s60, s81                                      // 00000000C310: BF0A513C
	s_cselect_b32 s58, s58, 0                                  // 00000000C314: 853A803A
	v_mfma_i32_16x16x32_i8 v[172:175], a[148:149], a[124:125], v[172:175]// 00000000C318: D3D700AC 1EB2F994
	s_add_u32 s60, 0x100, s80                                  // 00000000C320: 803C50FF 00000100
	s_cmp_lt_u32 s60, s81                                      // 00000000C328: BF0A513C
	s_cselect_b32 s83, s83, 0                                  // 00000000C32C: 85538053
	v_mfma_i32_16x16x32_i8 v[172:175], a[150:151], a[126:127], v[172:175]// 00000000C330: D3D700AC 1EB2FD96
	s_add_u32 s24, s58, s24                                    // 00000000C338: 8018183A
	s_addc_u32 s25, 0, s25                                     // 00000000C33C: 82191980
	v_mfma_i32_16x16x32_i8 v[204:207], a[152:153], a[120:121], v[204:207]// 00000000C340: D3D700CC 1F32F198
	s_add_u32 s20, s57, s20                                    // 00000000C348: 80141439
	s_addc_u32 s21, 0, s21                                     // 00000000C34C: 82151580
	v_mfma_i32_16x16x32_i8 v[204:207], a[154:155], a[122:123], v[204:207]// 00000000C350: D3D700CC 1F32F59A
	s_add_u32 s84, s83, s84                                    // 00000000C358: 80545453
	s_addc_u32 s85, 0, s85                                     // 00000000C35C: 82555580
	v_mfma_i32_16x16x32_i8 v[204:207], a[156:157], a[124:125], v[204:207]// 00000000C360: D3D700CC 1F32F99C
	v_mfma_i32_16x16x32_i8 v[204:207], a[158:159], a[126:127], v[204:207]// 00000000C368: D3D700CC 1F32FD9E
	s_addk_i32 s80, 0x80                                       // 00000000C370: B7500080
	s_cmp_lt_i32 s80, s81                                      // 00000000C374: BF045150
	s_cbranch_scc0 label_2971                                  // 00000000C378: BF84030F
	s_waitcnt vmcnt(20) lgkmcnt(0)                             // 00000000C37C: BF8C4074
	v_mfma_i32_16x16x32_i8 v[80:83], a[160:161], a[0:1], v[80:83]// 00000000C380: D3D70050 1D4201A0
	buffer_load_dwordx4 a[144:147], v78, s[24:27], 0 offen     // 00000000C388: E05C1000 8086904E
	v_mfma_i32_16x16x32_i8 v[80:83], a[162:163], a[2:3], v[80:83]// 00000000C390: D3D70050 1D4205A2
	v_mfma_i32_16x16x32_i8 v[80:83], a[164:165], a[4:5], v[80:83]// 00000000C398: D3D70050 1D4209A4
	v_mfma_i32_16x16x32_i8 v[80:83], a[166:167], a[6:7], v[80:83]// 00000000C3A0: D3D70050 1D420DA6
	v_mfma_i32_16x16x32_i8 v[112:115], a[168:169], a[0:1], v[112:115]// 00000000C3A8: D3D70070 1DC201A8
	buffer_load_dwordx4 a[148:151], v78, s[24:27], 0 offen offset:1024// 00000000C3B0: E05C1400 8086944E
	v_mfma_i32_16x16x32_i8 v[112:115], a[170:171], a[2:3], v[112:115]// 00000000C3B8: D3D70070 1DC205AA
	v_mfma_i32_16x16x32_i8 v[112:115], a[172:173], a[4:5], v[112:115]// 00000000C3C0: D3D70070 1DC209AC
	v_mfma_i32_16x16x32_i8 v[112:115], a[174:175], a[6:7], v[112:115]// 00000000C3C8: D3D70070 1DC20DAE
	v_mfma_i32_16x16x32_i8 v[84:87], a[160:161], a[8:9], v[84:87]// 00000000C3D0: D3D70054 1D5211A0
	buffer_load_dwordx4 a[152:155], v79, s[24:27], 0 offen     // 00000000C3D8: E05C1000 8086984F
	v_mfma_i32_16x16x32_i8 v[84:87], a[162:163], a[10:11], v[84:87]// 00000000C3E0: D3D70054 1D5215A2
	v_mfma_i32_16x16x32_i8 v[84:87], a[164:165], a[12:13], v[84:87]// 00000000C3E8: D3D70054 1D5219A4
	v_mfma_i32_16x16x32_i8 v[84:87], a[166:167], a[14:15], v[84:87]// 00000000C3F0: D3D70054 1D521DA6
	v_mfma_i32_16x16x32_i8 v[116:119], a[168:169], a[8:9], v[116:119]// 00000000C3F8: D3D70074 1DD211A8
	buffer_load_dwordx4 a[156:159], v79, s[24:27], 0 offen offset:1024// 00000000C400: E05C1400 80869C4F
	buffer_load_dword v62, s[20:23], 0 offen lds               // 00000000C408: E0511000 8005003E
	s_add_u32 m0, 0x100, s48                                   // 00000000C410: 807C30FF 00000100
	v_mfma_i32_16x16x32_i8 v[116:119], a[170:171], a[10:11], v[116:119]// 00000000C418: D3D70074 1DD215AA
	v_mfma_i32_16x16x32_i8 v[116:119], a[172:173], a[12:13], v[116:119]// 00000000C420: D3D70074 1DD219AC
	buffer_load_dword v63, s[20:23], 0 offen lds               // 00000000C428: E0511000 8005003F
	s_add_u32 m0, 0x200, s48                                   // 00000000C430: 807C30FF 00000200
	v_mfma_i32_16x16x32_i8 v[116:119], a[174:175], a[14:15], v[116:119]// 00000000C438: D3D70074 1DD21DAE
	v_mfma_i32_16x16x32_i8 v[88:91], a[160:161], a[16:17], v[88:91]// 00000000C440: D3D70058 1D6221A0
	buffer_load_dword v64, s[20:23], 0 offen lds               // 00000000C448: E0511000 80050040
	s_add_u32 m0, 0x300, s48                                   // 00000000C450: 807C30FF 00000300
	v_mfma_i32_16x16x32_i8 v[88:91], a[162:163], a[18:19], v[88:91]// 00000000C458: D3D70058 1D6225A2
	v_mfma_i32_16x16x32_i8 v[88:91], a[164:165], a[20:21], v[88:91]// 00000000C460: D3D70058 1D6229A4
	buffer_load_dword v65, s[20:23], 0 offen lds               // 00000000C468: E0511000 80050041
	s_add_u32 m0, 0x400, s48                                   // 00000000C470: 807C30FF 00000400
	v_mfma_i32_16x16x32_i8 v[88:91], a[166:167], a[22:23], v[88:91]// 00000000C478: D3D70058 1D622DA6
	v_mfma_i32_16x16x32_i8 v[120:123], a[168:169], a[16:17], v[120:123]// 00000000C480: D3D70078 1DE221A8
	buffer_load_dword v66, s[20:23], 0 offen lds               // 00000000C488: E0511000 80050042
	s_add_u32 m0, 0x500, s48                                   // 00000000C490: 807C30FF 00000500
	v_mfma_i32_16x16x32_i8 v[120:123], a[170:171], a[18:19], v[120:123]// 00000000C498: D3D70078 1DE225AA
	v_mfma_i32_16x16x32_i8 v[120:123], a[172:173], a[20:21], v[120:123]// 00000000C4A0: D3D70078 1DE229AC
	buffer_load_dword v67, s[20:23], 0 offen lds               // 00000000C4A8: E0511000 80050043
	s_add_u32 m0, 0x600, s48                                   // 00000000C4B0: 807C30FF 00000600
	v_mfma_i32_16x16x32_i8 v[120:123], a[174:175], a[22:23], v[120:123]// 00000000C4B8: D3D70078 1DE22DAE
	v_mfma_i32_16x16x32_i8 v[92:95], a[160:161], a[24:25], v[92:95]// 00000000C4C0: D3D7005C 1D7231A0
	buffer_load_dword v68, s[20:23], 0 offen lds               // 00000000C4C8: E0511000 80050044
	s_add_u32 m0, 0x700, s48                                   // 00000000C4D0: 807C30FF 00000700
	v_mfma_i32_16x16x32_i8 v[92:95], a[162:163], a[26:27], v[92:95]// 00000000C4D8: D3D7005C 1D7235A2
	v_mfma_i32_16x16x32_i8 v[92:95], a[164:165], a[28:29], v[92:95]// 00000000C4E0: D3D7005C 1D7239A4
	buffer_load_dword v69, s[20:23], 0 offen lds               // 00000000C4E8: E0511000 80050045
	s_add_u32 m0, 0x800, s48                                   // 00000000C4F0: 807C30FF 00000800
	v_mfma_i32_16x16x32_i8 v[92:95], a[166:167], a[30:31], v[92:95]// 00000000C4F8: D3D7005C 1D723DA6
	v_mfma_i32_16x16x32_i8 v[124:127], a[168:169], a[24:25], v[124:127]// 00000000C500: D3D7007C 1DF231A8
	buffer_load_dword v70, s[20:23], 0 offen lds               // 00000000C508: E0511000 80050046
	s_add_u32 m0, 0x900, s48                                   // 00000000C510: 807C30FF 00000900
	v_mfma_i32_16x16x32_i8 v[124:127], a[170:171], a[26:27], v[124:127]// 00000000C518: D3D7007C 1DF235AA
	v_mfma_i32_16x16x32_i8 v[124:127], a[172:173], a[28:29], v[124:127]// 00000000C520: D3D7007C 1DF239AC
	buffer_load_dword v71, s[20:23], 0 offen lds               // 00000000C528: E0511000 80050047
	s_add_u32 m0, 0xa00, s48                                   // 00000000C530: 807C30FF 00000A00
	v_mfma_i32_16x16x32_i8 v[124:127], a[174:175], a[30:31], v[124:127]// 00000000C538: D3D7007C 1DF23DAE
	v_mfma_i32_16x16x32_i8 v[96:99], a[160:161], a[32:33], v[96:99]// 00000000C540: D3D70060 1D8241A0
	v_mfma_i32_16x16x32_i8 v[96:99], a[162:163], a[34:35], v[96:99]// 00000000C548: D3D70060 1D8245A2
	v_mfma_i32_16x16x32_i8 v[96:99], a[164:165], a[36:37], v[96:99]// 00000000C550: D3D70060 1D8249A4
	v_mfma_i32_16x16x32_i8 v[96:99], a[166:167], a[38:39], v[96:99]// 00000000C558: D3D70060 1D824DA6
	v_mfma_i32_16x16x32_i8 v[128:131], a[168:169], a[32:33], v[128:131]// 00000000C560: D3D70080 1E0241A8
	v_mfma_i32_16x16x32_i8 v[128:131], a[170:171], a[34:35], v[128:131]// 00000000C568: D3D70080 1E0245AA
	v_mfma_i32_16x16x32_i8 v[128:131], a[172:173], a[36:37], v[128:131]// 00000000C570: D3D70080 1E0249AC
	v_mfma_i32_16x16x32_i8 v[128:131], a[174:175], a[38:39], v[128:131]// 00000000C578: D3D70080 1E024DAE
	v_mfma_i32_16x16x32_i8 v[100:103], a[160:161], a[40:41], v[100:103]// 00000000C580: D3D70064 1D9251A0
	buffer_load_dword v72, s[20:23], 0 offen lds               // 00000000C588: E0511000 80050048
	s_add_u32 m0, 0xb00, s48                                   // 00000000C590: 807C30FF 00000B00
	v_mfma_i32_16x16x32_i8 v[100:103], a[162:163], a[42:43], v[100:103]// 00000000C598: D3D70064 1D9255A2
	v_mfma_i32_16x16x32_i8 v[100:103], a[164:165], a[44:45], v[100:103]// 00000000C5A0: D3D70064 1D9259A4
	buffer_load_dword v73, s[20:23], 0 offen lds               // 00000000C5A8: E0511000 80050049
	s_add_u32 m0, 0xc00, s48                                   // 00000000C5B0: 807C30FF 00000C00
	v_mfma_i32_16x16x32_i8 v[100:103], a[166:167], a[46:47], v[100:103]// 00000000C5B8: D3D70064 1D925DA6
	v_mfma_i32_16x16x32_i8 v[132:135], a[168:169], a[40:41], v[132:135]// 00000000C5C0: D3D70084 1E1251A8
	buffer_load_dword v74, s[20:23], 0 offen lds               // 00000000C5C8: E0511000 8005004A
	s_add_u32 m0, 0xd00, s48                                   // 00000000C5D0: 807C30FF 00000D00
	v_mfma_i32_16x16x32_i8 v[132:135], a[170:171], a[42:43], v[132:135]// 00000000C5D8: D3D70084 1E1255AA
	v_mfma_i32_16x16x32_i8 v[132:135], a[172:173], a[44:45], v[132:135]// 00000000C5E0: D3D70084 1E1259AC
	buffer_load_dword v75, s[20:23], 0 offen lds               // 00000000C5E8: E0511000 8005004B
	s_add_u32 m0, 0xe00, s48                                   // 00000000C5F0: 807C30FF 00000E00
	v_mfma_i32_16x16x32_i8 v[132:135], a[174:175], a[46:47], v[132:135]// 00000000C5F8: D3D70084 1E125DAE
	v_mfma_i32_16x16x32_i8 v[104:107], a[160:161], a[48:49], v[104:107]// 00000000C600: D3D70068 1DA261A0
	v_mfma_i32_16x16x32_i8 v[104:107], a[162:163], a[50:51], v[104:107]// 00000000C608: D3D70068 1DA265A2
	v_mfma_i32_16x16x32_i8 v[104:107], a[164:165], a[52:53], v[104:107]// 00000000C610: D3D70068 1DA269A4
	v_mfma_i32_16x16x32_i8 v[104:107], a[166:167], a[54:55], v[104:107]// 00000000C618: D3D70068 1DA26DA6
	v_mfma_i32_16x16x32_i8 v[136:139], a[168:169], a[48:49], v[136:139]// 00000000C620: D3D70088 1E2261A8
	v_mfma_i32_16x16x32_i8 v[136:139], a[170:171], a[50:51], v[136:139]// 00000000C628: D3D70088 1E2265AA
	v_mfma_i32_16x16x32_i8 v[136:139], a[172:173], a[52:53], v[136:139]// 00000000C630: D3D70088 1E2269AC
	v_mfma_i32_16x16x32_i8 v[136:139], a[174:175], a[54:55], v[136:139]// 00000000C638: D3D70088 1E226DAE
	v_mfma_i32_16x16x32_i8 v[108:111], a[160:161], a[56:57], v[108:111]// 00000000C640: D3D7006C 1DB271A0
	buffer_load_dword v76, s[20:23], 0 offen lds               // 00000000C648: E0511000 8005004C
	s_add_u32 m0, 0xf00, s48                                   // 00000000C650: 807C30FF 00000F00
	v_mfma_i32_16x16x32_i8 v[108:111], a[162:163], a[58:59], v[108:111]// 00000000C658: D3D7006C 1DB275A2
	v_mfma_i32_16x16x32_i8 v[108:111], a[164:165], a[60:61], v[108:111]// 00000000C660: D3D7006C 1DB279A4
	buffer_load_dword v77, s[20:23], 0 offen lds               // 00000000C668: E0511000 8005004D
	s_add_u32 m0, 0, s49                                       // 00000000C670: 807C3180
	v_mfma_i32_16x16x32_i8 v[108:111], a[166:167], a[62:63], v[108:111]// 00000000C674: D3D7006C 1DB27DA6
	v_mfma_i32_16x16x32_i8 v[140:143], a[168:169], a[56:57], v[140:143]// 00000000C67C: D3D7008C 1E3271A8
	v_mfma_i32_16x16x32_i8 v[140:143], a[170:171], a[58:59], v[140:143]// 00000000C684: D3D7008C 1E3275AA
	v_mfma_i32_16x16x32_i8 v[140:143], a[172:173], a[60:61], v[140:143]// 00000000C68C: D3D7008C 1E3279AC
	v_mfma_i32_16x16x32_i8 v[140:143], a[174:175], a[62:63], v[140:143]// 00000000C694: D3D7008C 1E327DAE
	s_waitcnt vmcnt(20)                                        // 00000000C69C: BF8C4F74
	s_barrier                                                  // 00000000C6A0: BF8A0000
	v_mfma_i32_16x16x32_i8 v[144:147], a[128:129], a[0:1], v[144:147]// 00000000C6A4: D3D70090 1E420180
	buffer_load_dwordx4 a[160:163], v78, s[84:87], 0 offen     // 00000000C6AC: E05C1000 8095A04E
	v_mfma_i32_16x16x32_i8 v[144:147], a[130:131], a[2:3], v[144:147]// 00000000C6B4: D3D70090 1E420582
	v_mfma_i32_16x16x32_i8 v[144:147], a[132:133], a[4:5], v[144:147]// 00000000C6BC: D3D70090 1E420984
	ds_read_b128 a[64:67], v2 offset:33024                     // 00000000C6C4: DBFE8100 40000002
	ds_read_b128 a[68:71], v2 offset:33088                     // 00000000C6CC: DBFE8140 44000002
	v_mfma_i32_16x16x32_i8 v[144:147], a[134:135], a[6:7], v[144:147]// 00000000C6D4: D3D70090 1E420D86
	v_mfma_i32_16x16x32_i8 v[176:179], a[136:137], a[0:1], v[176:179]// 00000000C6DC: D3D700B0 1EC20188
	buffer_load_dwordx4 a[164:167], v78, s[84:87], 0 offen offset:1024// 00000000C6E4: E05C1400 8095A44E
	v_mfma_i32_16x16x32_i8 v[176:179], a[138:139], a[2:3], v[176:179]// 00000000C6EC: D3D700B0 1EC2058A
	v_mfma_i32_16x16x32_i8 v[176:179], a[140:141], a[4:5], v[176:179]// 00000000C6F4: D3D700B0 1EC2098C
	ds_read_b128 a[72:75], v2 offset:33536                     // 00000000C6FC: DBFE8300 48000002
	ds_read_b128 a[76:79], v2 offset:33600                     // 00000000C704: DBFE8340 4C000002
	v_mfma_i32_16x16x32_i8 v[176:179], a[142:143], a[6:7], v[176:179]// 00000000C70C: D3D700B0 1EC20D8E
	v_mfma_i32_16x16x32_i8 v[148:151], a[128:129], a[8:9], v[148:151]// 00000000C714: D3D70094 1E521180
	buffer_load_dwordx4 a[168:171], v79, s[84:87], 0 offen     // 00000000C71C: E05C1000 8095A84F
	v_mfma_i32_16x16x32_i8 v[148:151], a[130:131], a[10:11], v[148:151]// 00000000C724: D3D70094 1E521582
	v_mfma_i32_16x16x32_i8 v[148:151], a[132:133], a[12:13], v[148:151]// 00000000C72C: D3D70094 1E521984
	ds_read_b128 a[80:83], v2 offset:34048                     // 00000000C734: DBFE8500 50000002
	ds_read_b128 a[84:87], v2 offset:34112                     // 00000000C73C: DBFE8540 54000002
	v_mfma_i32_16x16x32_i8 v[148:151], a[134:135], a[14:15], v[148:151]// 00000000C744: D3D70094 1E521D86
	v_mfma_i32_16x16x32_i8 v[180:183], a[136:137], a[8:9], v[180:183]// 00000000C74C: D3D700B4 1ED21188
	buffer_load_dwordx4 a[172:175], v79, s[84:87], 0 offen offset:1024// 00000000C754: E05C1400 8095AC4F
	v_mfma_i32_16x16x32_i8 v[180:183], a[138:139], a[10:11], v[180:183]// 00000000C75C: D3D700B4 1ED2158A
	v_mfma_i32_16x16x32_i8 v[180:183], a[140:141], a[12:13], v[180:183]// 00000000C764: D3D700B4 1ED2198C
	ds_read_b128 a[88:91], v2 offset:34560                     // 00000000C76C: DBFE8700 58000002
	ds_read_b128 a[92:95], v2 offset:34624                     // 00000000C774: DBFE8740 5C000002
	v_mfma_i32_16x16x32_i8 v[180:183], a[142:143], a[14:15], v[180:183]// 00000000C77C: D3D700B4 1ED21D8E
	v_mfma_i32_16x16x32_i8 v[152:155], a[128:129], a[16:17], v[152:155]// 00000000C784: D3D70098 1E622180
	v_mfma_i32_16x16x32_i8 v[152:155], a[130:131], a[18:19], v[152:155]// 00000000C78C: D3D70098 1E622582
	v_mfma_i32_16x16x32_i8 v[152:155], a[132:133], a[20:21], v[152:155]// 00000000C794: D3D70098 1E622984
	ds_read_b128 a[96:99], v2 offset:35072                     // 00000000C79C: DBFE8900 60000002
	ds_read_b128 a[100:103], v2 offset:35136                   // 00000000C7A4: DBFE8940 64000002
	v_mfma_i32_16x16x32_i8 v[152:155], a[134:135], a[22:23], v[152:155]// 00000000C7AC: D3D70098 1E622D86
	v_mfma_i32_16x16x32_i8 v[184:187], a[136:137], a[16:17], v[184:187]// 00000000C7B4: D3D700B8 1EE22188
	v_mfma_i32_16x16x32_i8 v[184:187], a[138:139], a[18:19], v[184:187]// 00000000C7BC: D3D700B8 1EE2258A
	v_mfma_i32_16x16x32_i8 v[184:187], a[140:141], a[20:21], v[184:187]// 00000000C7C4: D3D700B8 1EE2298C
	ds_read_b128 a[104:107], v2 offset:35584                   // 00000000C7CC: DBFE8B00 68000002
	ds_read_b128 a[108:111], v2 offset:35648                   // 00000000C7D4: DBFE8B40 6C000002
	v_mfma_i32_16x16x32_i8 v[184:187], a[142:143], a[22:23], v[184:187]// 00000000C7DC: D3D700B8 1EE22D8E
	v_mfma_i32_16x16x32_i8 v[156:159], a[128:129], a[24:25], v[156:159]// 00000000C7E4: D3D7009C 1E723180
	v_mfma_i32_16x16x32_i8 v[156:159], a[130:131], a[26:27], v[156:159]// 00000000C7EC: D3D7009C 1E723582
	v_mfma_i32_16x16x32_i8 v[156:159], a[132:133], a[28:29], v[156:159]// 00000000C7F4: D3D7009C 1E723984
	ds_read_b128 a[112:115], v2 offset:36096                   // 00000000C7FC: DBFE8D00 70000002
	ds_read_b128 a[116:119], v2 offset:36160                   // 00000000C804: DBFE8D40 74000002
	v_mfma_i32_16x16x32_i8 v[156:159], a[134:135], a[30:31], v[156:159]// 00000000C80C: D3D7009C 1E723D86
	v_mfma_i32_16x16x32_i8 v[188:191], a[136:137], a[24:25], v[188:191]// 00000000C814: D3D700BC 1EF23188
	v_mfma_i32_16x16x32_i8 v[188:191], a[138:139], a[26:27], v[188:191]// 00000000C81C: D3D700BC 1EF2358A
	v_mfma_i32_16x16x32_i8 v[188:191], a[140:141], a[28:29], v[188:191]// 00000000C824: D3D700BC 1EF2398C
	ds_read_b128 a[120:123], v2 offset:36608                   // 00000000C82C: DBFE8F00 78000002
	ds_read_b128 a[124:127], v2 offset:36672                   // 00000000C834: DBFE8F40 7C000002
	v_mfma_i32_16x16x32_i8 v[188:191], a[142:143], a[30:31], v[188:191]// 00000000C83C: D3D700BC 1EF23D8E
	v_mfma_i32_16x16x32_i8 v[160:163], a[128:129], a[32:33], v[160:163]// 00000000C844: D3D700A0 1E824180
	v_mfma_i32_16x16x32_i8 v[160:163], a[130:131], a[34:35], v[160:163]// 00000000C84C: D3D700A0 1E824582
	v_mfma_i32_16x16x32_i8 v[160:163], a[132:133], a[36:37], v[160:163]// 00000000C854: D3D700A0 1E824984
	v_mfma_i32_16x16x32_i8 v[160:163], a[134:135], a[38:39], v[160:163]// 00000000C85C: D3D700A0 1E824D86
	v_mfma_i32_16x16x32_i8 v[192:195], a[136:137], a[32:33], v[192:195]// 00000000C864: D3D700C0 1F024188
	v_mfma_i32_16x16x32_i8 v[192:195], a[138:139], a[34:35], v[192:195]// 00000000C86C: D3D700C0 1F02458A
	v_mfma_i32_16x16x32_i8 v[192:195], a[140:141], a[36:37], v[192:195]// 00000000C874: D3D700C0 1F02498C
	v_mfma_i32_16x16x32_i8 v[192:195], a[142:143], a[38:39], v[192:195]// 00000000C87C: D3D700C0 1F024D8E
	v_mfma_i32_16x16x32_i8 v[164:167], a[128:129], a[40:41], v[164:167]// 00000000C884: D3D700A4 1E925180
	v_mfma_i32_16x16x32_i8 v[164:167], a[130:131], a[42:43], v[164:167]// 00000000C88C: D3D700A4 1E925582
	v_mfma_i32_16x16x32_i8 v[164:167], a[132:133], a[44:45], v[164:167]// 00000000C894: D3D700A4 1E925984
	v_mfma_i32_16x16x32_i8 v[164:167], a[134:135], a[46:47], v[164:167]// 00000000C89C: D3D700A4 1E925D86
	v_mfma_i32_16x16x32_i8 v[196:199], a[136:137], a[40:41], v[196:199]// 00000000C8A4: D3D700C4 1F125188
	v_mfma_i32_16x16x32_i8 v[196:199], a[138:139], a[42:43], v[196:199]// 00000000C8AC: D3D700C4 1F12558A
	v_mfma_i32_16x16x32_i8 v[196:199], a[140:141], a[44:45], v[196:199]// 00000000C8B4: D3D700C4 1F12598C
	v_mfma_i32_16x16x32_i8 v[196:199], a[142:143], a[46:47], v[196:199]// 00000000C8BC: D3D700C4 1F125D8E
	v_mfma_i32_16x16x32_i8 v[168:171], a[128:129], a[48:49], v[168:171]// 00000000C8C4: D3D700A8 1EA26180
	v_mfma_i32_16x16x32_i8 v[168:171], a[130:131], a[50:51], v[168:171]// 00000000C8CC: D3D700A8 1EA26582
	v_mfma_i32_16x16x32_i8 v[168:171], a[132:133], a[52:53], v[168:171]// 00000000C8D4: D3D700A8 1EA26984
	v_mfma_i32_16x16x32_i8 v[168:171], a[134:135], a[54:55], v[168:171]// 00000000C8DC: D3D700A8 1EA26D86
	v_mfma_i32_16x16x32_i8 v[200:203], a[136:137], a[48:49], v[200:203]// 00000000C8E4: D3D700C8 1F226188
	v_mfma_i32_16x16x32_i8 v[200:203], a[138:139], a[50:51], v[200:203]// 00000000C8EC: D3D700C8 1F22658A
	v_mfma_i32_16x16x32_i8 v[200:203], a[140:141], a[52:53], v[200:203]// 00000000C8F4: D3D700C8 1F22698C
	v_mfma_i32_16x16x32_i8 v[200:203], a[142:143], a[54:55], v[200:203]// 00000000C8FC: D3D700C8 1F226D8E
	v_mfma_i32_16x16x32_i8 v[172:175], a[128:129], a[56:57], v[172:175]// 00000000C904: D3D700AC 1EB27180
	s_add_u32 s60, 0x180, s80                                  // 00000000C90C: 803C50FF 00000180
	s_cmp_lt_u32 s60, s81                                      // 00000000C914: BF0A513C
	s_cselect_b32 s57, s57, 0                                  // 00000000C918: 85398039
	v_mfma_i32_16x16x32_i8 v[172:175], a[130:131], a[58:59], v[172:175]// 00000000C91C: D3D700AC 1EB27582
	s_add_u32 s60, 0x100, s80                                  // 00000000C924: 803C50FF 00000100
	s_cmp_lt_u32 s60, s81                                      // 00000000C92C: BF0A513C
	s_cselect_b32 s58, s58, 0                                  // 00000000C930: 853A803A
	v_mfma_i32_16x16x32_i8 v[172:175], a[132:133], a[60:61], v[172:175]// 00000000C934: D3D700AC 1EB27984
	s_add_u32 s60, 0x100, s80                                  // 00000000C93C: 803C50FF 00000100
	s_cmp_lt_u32 s60, s81                                      // 00000000C944: BF0A513C
	s_cselect_b32 s83, s83, 0                                  // 00000000C948: 85538053
	v_mfma_i32_16x16x32_i8 v[172:175], a[134:135], a[62:63], v[172:175]// 00000000C94C: D3D700AC 1EB27D86
	s_add_u32 s24, s58, s24                                    // 00000000C954: 8018183A
	s_addc_u32 s25, 0, s25                                     // 00000000C958: 82191980
	v_mfma_i32_16x16x32_i8 v[204:207], a[136:137], a[56:57], v[204:207]// 00000000C95C: D3D700CC 1F327188
	s_add_u32 s20, s57, s20                                    // 00000000C964: 80141439
	s_addc_u32 s21, 0, s21                                     // 00000000C968: 82151580
	v_mfma_i32_16x16x32_i8 v[204:207], a[138:139], a[58:59], v[204:207]// 00000000C96C: D3D700CC 1F32758A
	s_add_u32 s84, s83, s84                                    // 00000000C974: 80545453
	s_addc_u32 s85, 0, s85                                     // 00000000C978: 82555580
	v_mfma_i32_16x16x32_i8 v[204:207], a[140:141], a[60:61], v[204:207]// 00000000C97C: D3D700CC 1F32798C
	v_mfma_i32_16x16x32_i8 v[204:207], a[142:143], a[62:63], v[204:207]// 00000000C984: D3D700CC 1F327D8E
	s_addk_i32 s80, 0x80                                       // 00000000C98C: B7500080
	s_cmp_lt_i32 s80, s81                                      // 00000000C990: BF045150
	s_cbranch_scc0 label_2971                                  // 00000000C994: BF840188
	s_waitcnt vmcnt(20) lgkmcnt(0)                             // 00000000C998: BF8C4074
	v_mfma_i32_16x16x32_i8 v[80:83], a[144:145], a[64:65], v[80:83]// 00000000C99C: D3D70050 1D428190
	buffer_load_dwordx4 a[128:131], v78, s[24:27], 0 offen     // 00000000C9A4: E05C1000 8086804E
	v_mfma_i32_16x16x32_i8 v[80:83], a[146:147], a[66:67], v[80:83]// 00000000C9AC: D3D70050 1D428592
	v_mfma_i32_16x16x32_i8 v[80:83], a[148:149], a[68:69], v[80:83]// 00000000C9B4: D3D70050 1D428994
	v_mfma_i32_16x16x32_i8 v[80:83], a[150:151], a[70:71], v[80:83]// 00000000C9BC: D3D70050 1D428D96
	v_mfma_i32_16x16x32_i8 v[112:115], a[152:153], a[64:65], v[112:115]// 00000000C9C4: D3D70070 1DC28198
	buffer_load_dwordx4 a[132:135], v78, s[24:27], 0 offen offset:1024// 00000000C9CC: E05C1400 8086844E
	v_mfma_i32_16x16x32_i8 v[112:115], a[154:155], a[66:67], v[112:115]// 00000000C9D4: D3D70070 1DC2859A
	v_mfma_i32_16x16x32_i8 v[112:115], a[156:157], a[68:69], v[112:115]// 00000000C9DC: D3D70070 1DC2899C
	v_mfma_i32_16x16x32_i8 v[112:115], a[158:159], a[70:71], v[112:115]// 00000000C9E4: D3D70070 1DC28D9E
	v_mfma_i32_16x16x32_i8 v[84:87], a[144:145], a[72:73], v[84:87]// 00000000C9EC: D3D70054 1D529190
	buffer_load_dwordx4 a[136:139], v79, s[24:27], 0 offen     // 00000000C9F4: E05C1000 8086884F
	v_mfma_i32_16x16x32_i8 v[84:87], a[146:147], a[74:75], v[84:87]// 00000000C9FC: D3D70054 1D529592
	v_mfma_i32_16x16x32_i8 v[84:87], a[148:149], a[76:77], v[84:87]// 00000000CA04: D3D70054 1D529994
	v_mfma_i32_16x16x32_i8 v[84:87], a[150:151], a[78:79], v[84:87]// 00000000CA0C: D3D70054 1D529D96
	v_mfma_i32_16x16x32_i8 v[116:119], a[152:153], a[72:73], v[116:119]// 00000000CA14: D3D70074 1DD29198
	buffer_load_dwordx4 a[140:143], v79, s[24:27], 0 offen offset:1024// 00000000CA1C: E05C1400 80868C4F
	buffer_load_dword v62, s[20:23], 0 offen lds               // 00000000CA24: E0511000 8005003E
	s_add_u32 m0, 0x100, s49                                   // 00000000CA2C: 807C31FF 00000100
	v_mfma_i32_16x16x32_i8 v[116:119], a[154:155], a[74:75], v[116:119]// 00000000CA34: D3D70074 1DD2959A
	v_mfma_i32_16x16x32_i8 v[116:119], a[156:157], a[76:77], v[116:119]// 00000000CA3C: D3D70074 1DD2999C
	buffer_load_dword v63, s[20:23], 0 offen lds               // 00000000CA44: E0511000 8005003F
	s_add_u32 m0, 0x200, s49                                   // 00000000CA4C: 807C31FF 00000200
	v_mfma_i32_16x16x32_i8 v[116:119], a[158:159], a[78:79], v[116:119]// 00000000CA54: D3D70074 1DD29D9E
	v_mfma_i32_16x16x32_i8 v[88:91], a[144:145], a[80:81], v[88:91]// 00000000CA5C: D3D70058 1D62A190
	buffer_load_dword v64, s[20:23], 0 offen lds               // 00000000CA64: E0511000 80050040
	s_add_u32 m0, 0x300, s49                                   // 00000000CA6C: 807C31FF 00000300
	v_mfma_i32_16x16x32_i8 v[88:91], a[146:147], a[82:83], v[88:91]// 00000000CA74: D3D70058 1D62A592
	v_mfma_i32_16x16x32_i8 v[88:91], a[148:149], a[84:85], v[88:91]// 00000000CA7C: D3D70058 1D62A994
	buffer_load_dword v65, s[20:23], 0 offen lds               // 00000000CA84: E0511000 80050041
	s_add_u32 m0, 0x400, s49                                   // 00000000CA8C: 807C31FF 00000400
	v_mfma_i32_16x16x32_i8 v[88:91], a[150:151], a[86:87], v[88:91]// 00000000CA94: D3D70058 1D62AD96
	v_mfma_i32_16x16x32_i8 v[120:123], a[152:153], a[80:81], v[120:123]// 00000000CA9C: D3D70078 1DE2A198
	buffer_load_dword v66, s[20:23], 0 offen lds               // 00000000CAA4: E0511000 80050042
	s_add_u32 m0, 0x500, s49                                   // 00000000CAAC: 807C31FF 00000500
	v_mfma_i32_16x16x32_i8 v[120:123], a[154:155], a[82:83], v[120:123]// 00000000CAB4: D3D70078 1DE2A59A
	v_mfma_i32_16x16x32_i8 v[120:123], a[156:157], a[84:85], v[120:123]// 00000000CABC: D3D70078 1DE2A99C
	buffer_load_dword v67, s[20:23], 0 offen lds               // 00000000CAC4: E0511000 80050043
	s_add_u32 m0, 0x600, s49                                   // 00000000CACC: 807C31FF 00000600
	v_mfma_i32_16x16x32_i8 v[120:123], a[158:159], a[86:87], v[120:123]// 00000000CAD4: D3D70078 1DE2AD9E
	v_mfma_i32_16x16x32_i8 v[92:95], a[144:145], a[88:89], v[92:95]// 00000000CADC: D3D7005C 1D72B190
	buffer_load_dword v68, s[20:23], 0 offen lds               // 00000000CAE4: E0511000 80050044
	s_add_u32 m0, 0x700, s49                                   // 00000000CAEC: 807C31FF 00000700
	v_mfma_i32_16x16x32_i8 v[92:95], a[146:147], a[90:91], v[92:95]// 00000000CAF4: D3D7005C 1D72B592
	v_mfma_i32_16x16x32_i8 v[92:95], a[148:149], a[92:93], v[92:95]// 00000000CAFC: D3D7005C 1D72B994
	buffer_load_dword v69, s[20:23], 0 offen lds               // 00000000CB04: E0511000 80050045
	s_add_u32 m0, 0x800, s49                                   // 00000000CB0C: 807C31FF 00000800
	v_mfma_i32_16x16x32_i8 v[92:95], a[150:151], a[94:95], v[92:95]// 00000000CB14: D3D7005C 1D72BD96
	v_mfma_i32_16x16x32_i8 v[124:127], a[152:153], a[88:89], v[124:127]// 00000000CB1C: D3D7007C 1DF2B198
	buffer_load_dword v70, s[20:23], 0 offen lds               // 00000000CB24: E0511000 80050046
	s_add_u32 m0, 0x900, s49                                   // 00000000CB2C: 807C31FF 00000900
	v_mfma_i32_16x16x32_i8 v[124:127], a[154:155], a[90:91], v[124:127]// 00000000CB34: D3D7007C 1DF2B59A
	v_mfma_i32_16x16x32_i8 v[124:127], a[156:157], a[92:93], v[124:127]// 00000000CB3C: D3D7007C 1DF2B99C
	buffer_load_dword v71, s[20:23], 0 offen lds               // 00000000CB44: E0511000 80050047
	s_add_u32 m0, 0xa00, s49                                   // 00000000CB4C: 807C31FF 00000A00
	v_mfma_i32_16x16x32_i8 v[124:127], a[158:159], a[94:95], v[124:127]// 00000000CB54: D3D7007C 1DF2BD9E
	v_mfma_i32_16x16x32_i8 v[96:99], a[144:145], a[96:97], v[96:99]// 00000000CB5C: D3D70060 1D82C190
	v_mfma_i32_16x16x32_i8 v[96:99], a[146:147], a[98:99], v[96:99]// 00000000CB64: D3D70060 1D82C592
	v_mfma_i32_16x16x32_i8 v[96:99], a[148:149], a[100:101], v[96:99]// 00000000CB6C: D3D70060 1D82C994
	v_mfma_i32_16x16x32_i8 v[96:99], a[150:151], a[102:103], v[96:99]// 00000000CB74: D3D70060 1D82CD96
	v_mfma_i32_16x16x32_i8 v[128:131], a[152:153], a[96:97], v[128:131]// 00000000CB7C: D3D70080 1E02C198
	v_mfma_i32_16x16x32_i8 v[128:131], a[154:155], a[98:99], v[128:131]// 00000000CB84: D3D70080 1E02C59A
	v_mfma_i32_16x16x32_i8 v[128:131], a[156:157], a[100:101], v[128:131]// 00000000CB8C: D3D70080 1E02C99C
	v_mfma_i32_16x16x32_i8 v[128:131], a[158:159], a[102:103], v[128:131]// 00000000CB94: D3D70080 1E02CD9E
	v_mfma_i32_16x16x32_i8 v[100:103], a[144:145], a[104:105], v[100:103]// 00000000CB9C: D3D70064 1D92D190
	buffer_load_dword v72, s[20:23], 0 offen lds               // 00000000CBA4: E0511000 80050048
	s_add_u32 m0, 0xb00, s49                                   // 00000000CBAC: 807C31FF 00000B00
	v_mfma_i32_16x16x32_i8 v[100:103], a[146:147], a[106:107], v[100:103]// 00000000CBB4: D3D70064 1D92D592
	v_mfma_i32_16x16x32_i8 v[100:103], a[148:149], a[108:109], v[100:103]// 00000000CBBC: D3D70064 1D92D994
	buffer_load_dword v73, s[20:23], 0 offen lds               // 00000000CBC4: E0511000 80050049
	s_add_u32 m0, 0xc00, s49                                   // 00000000CBCC: 807C31FF 00000C00
	v_mfma_i32_16x16x32_i8 v[100:103], a[150:151], a[110:111], v[100:103]// 00000000CBD4: D3D70064 1D92DD96
	v_mfma_i32_16x16x32_i8 v[132:135], a[152:153], a[104:105], v[132:135]// 00000000CBDC: D3D70084 1E12D198
	buffer_load_dword v74, s[20:23], 0 offen lds               // 00000000CBE4: E0511000 8005004A
	s_add_u32 m0, 0xd00, s49                                   // 00000000CBEC: 807C31FF 00000D00
	v_mfma_i32_16x16x32_i8 v[132:135], a[154:155], a[106:107], v[132:135]// 00000000CBF4: D3D70084 1E12D59A
	v_mfma_i32_16x16x32_i8 v[132:135], a[156:157], a[108:109], v[132:135]// 00000000CBFC: D3D70084 1E12D99C
	buffer_load_dword v75, s[20:23], 0 offen lds               // 00000000CC04: E0511000 8005004B
	s_add_u32 m0, 0xe00, s49                                   // 00000000CC0C: 807C31FF 00000E00
	v_mfma_i32_16x16x32_i8 v[132:135], a[158:159], a[110:111], v[132:135]// 00000000CC14: D3D70084 1E12DD9E
	v_mfma_i32_16x16x32_i8 v[104:107], a[144:145], a[112:113], v[104:107]// 00000000CC1C: D3D70068 1DA2E190
	v_mfma_i32_16x16x32_i8 v[104:107], a[146:147], a[114:115], v[104:107]// 00000000CC24: D3D70068 1DA2E592
	v_mfma_i32_16x16x32_i8 v[104:107], a[148:149], a[116:117], v[104:107]// 00000000CC2C: D3D70068 1DA2E994
	v_mfma_i32_16x16x32_i8 v[104:107], a[150:151], a[118:119], v[104:107]// 00000000CC34: D3D70068 1DA2ED96
	v_mfma_i32_16x16x32_i8 v[136:139], a[152:153], a[112:113], v[136:139]// 00000000CC3C: D3D70088 1E22E198
	v_mfma_i32_16x16x32_i8 v[136:139], a[154:155], a[114:115], v[136:139]// 00000000CC44: D3D70088 1E22E59A
	v_mfma_i32_16x16x32_i8 v[136:139], a[156:157], a[116:117], v[136:139]// 00000000CC4C: D3D70088 1E22E99C
	v_mfma_i32_16x16x32_i8 v[136:139], a[158:159], a[118:119], v[136:139]// 00000000CC54: D3D70088 1E22ED9E
	v_mfma_i32_16x16x32_i8 v[108:111], a[144:145], a[120:121], v[108:111]// 00000000CC5C: D3D7006C 1DB2F190
	buffer_load_dword v76, s[20:23], 0 offen lds               // 00000000CC64: E0511000 8005004C
	s_add_u32 m0, 0xf00, s49                                   // 00000000CC6C: 807C31FF 00000F00
	v_mfma_i32_16x16x32_i8 v[108:111], a[146:147], a[122:123], v[108:111]// 00000000CC74: D3D7006C 1DB2F592
	v_mfma_i32_16x16x32_i8 v[108:111], a[148:149], a[124:125], v[108:111]// 00000000CC7C: D3D7006C 1DB2F994
	buffer_load_dword v77, s[20:23], 0 offen lds               // 00000000CC84: E0511000 8005004D
	s_add_u32 m0, 0, s50                                       // 00000000CC8C: 807C3280
	v_mfma_i32_16x16x32_i8 v[108:111], a[150:151], a[126:127], v[108:111]// 00000000CC90: D3D7006C 1DB2FD96
	v_mfma_i32_16x16x32_i8 v[140:143], a[152:153], a[120:121], v[140:143]// 00000000CC98: D3D7008C 1E32F198
	v_mfma_i32_16x16x32_i8 v[140:143], a[154:155], a[122:123], v[140:143]// 00000000CCA0: D3D7008C 1E32F59A
	v_mfma_i32_16x16x32_i8 v[140:143], a[156:157], a[124:125], v[140:143]// 00000000CCA8: D3D7008C 1E32F99C
	v_mfma_i32_16x16x32_i8 v[140:143], a[158:159], a[126:127], v[140:143]// 00000000CCB0: D3D7008C 1E32FD9E
	s_waitcnt vmcnt(20)                                        // 00000000CCB8: BF8C4F74
	s_barrier                                                  // 00000000CCBC: BF8A0000
	v_mfma_i32_16x16x32_i8 v[144:147], a[160:161], a[64:65], v[144:147]// 00000000CCC0: D3D70090 1E4281A0
	buffer_load_dwordx4 a[144:147], v78, s[84:87], 0 offen     // 00000000CCC8: E05C1000 8095904E
	v_mfma_i32_16x16x32_i8 v[144:147], a[162:163], a[66:67], v[144:147]// 00000000CCD0: D3D70090 1E4285A2
	v_mfma_i32_16x16x32_i8 v[144:147], a[164:165], a[68:69], v[144:147]// 00000000CCD8: D3D70090 1E4289A4
	ds_read_b128 a[0:3], v2                                    // 00000000CCE0: DBFE0000 00000002
	ds_read_b128 a[4:7], v2 offset:64                          // 00000000CCE8: DBFE0040 04000002
	v_mfma_i32_16x16x32_i8 v[144:147], a[166:167], a[70:71], v[144:147]// 00000000CCF0: D3D70090 1E428DA6
	v_mfma_i32_16x16x32_i8 v[176:179], a[168:169], a[64:65], v[176:179]// 00000000CCF8: D3D700B0 1EC281A8
	buffer_load_dwordx4 a[148:151], v78, s[84:87], 0 offen offset:1024// 00000000CD00: E05C1400 8095944E
	v_mfma_i32_16x16x32_i8 v[176:179], a[170:171], a[66:67], v[176:179]// 00000000CD08: D3D700B0 1EC285AA
	v_mfma_i32_16x16x32_i8 v[176:179], a[172:173], a[68:69], v[176:179]// 00000000CD10: D3D700B0 1EC289AC
	ds_read_b128 a[8:11], v2 offset:512                        // 00000000CD18: DBFE0200 08000002
	ds_read_b128 a[12:15], v2 offset:576                       // 00000000CD20: DBFE0240 0C000002
	v_mfma_i32_16x16x32_i8 v[176:179], a[174:175], a[70:71], v[176:179]// 00000000CD28: D3D700B0 1EC28DAE
	v_mfma_i32_16x16x32_i8 v[148:151], a[160:161], a[72:73], v[148:151]// 00000000CD30: D3D70094 1E5291A0
	buffer_load_dwordx4 a[152:155], v79, s[84:87], 0 offen     // 00000000CD38: E05C1000 8095984F
	v_mfma_i32_16x16x32_i8 v[148:151], a[162:163], a[74:75], v[148:151]// 00000000CD40: D3D70094 1E5295A2
	v_mfma_i32_16x16x32_i8 v[148:151], a[164:165], a[76:77], v[148:151]// 00000000CD48: D3D70094 1E5299A4
	ds_read_b128 a[16:19], v2 offset:1024                      // 00000000CD50: DBFE0400 10000002
	ds_read_b128 a[20:23], v2 offset:1088                      // 00000000CD58: DBFE0440 14000002
	v_mfma_i32_16x16x32_i8 v[148:151], a[166:167], a[78:79], v[148:151]// 00000000CD60: D3D70094 1E529DA6
	v_mfma_i32_16x16x32_i8 v[180:183], a[168:169], a[72:73], v[180:183]// 00000000CD68: D3D700B4 1ED291A8
	buffer_load_dwordx4 a[156:159], v79, s[84:87], 0 offen offset:1024// 00000000CD70: E05C1400 80959C4F
	v_mfma_i32_16x16x32_i8 v[180:183], a[170:171], a[74:75], v[180:183]// 00000000CD78: D3D700B4 1ED295AA
	v_mfma_i32_16x16x32_i8 v[180:183], a[172:173], a[76:77], v[180:183]// 00000000CD80: D3D700B4 1ED299AC
	ds_read_b128 a[24:27], v2 offset:1536                      // 00000000CD88: DBFE0600 18000002
	ds_read_b128 a[28:31], v2 offset:1600                      // 00000000CD90: DBFE0640 1C000002
	v_mfma_i32_16x16x32_i8 v[180:183], a[174:175], a[78:79], v[180:183]// 00000000CD98: D3D700B4 1ED29DAE
	v_mfma_i32_16x16x32_i8 v[152:155], a[160:161], a[80:81], v[152:155]// 00000000CDA0: D3D70098 1E62A1A0
	v_mfma_i32_16x16x32_i8 v[152:155], a[162:163], a[82:83], v[152:155]// 00000000CDA8: D3D70098 1E62A5A2
	v_mfma_i32_16x16x32_i8 v[152:155], a[164:165], a[84:85], v[152:155]// 00000000CDB0: D3D70098 1E62A9A4
	ds_read_b128 a[32:35], v2 offset:2048                      // 00000000CDB8: DBFE0800 20000002
	ds_read_b128 a[36:39], v2 offset:2112                      // 00000000CDC0: DBFE0840 24000002
	v_mfma_i32_16x16x32_i8 v[152:155], a[166:167], a[86:87], v[152:155]// 00000000CDC8: D3D70098 1E62ADA6
	v_mfma_i32_16x16x32_i8 v[184:187], a[168:169], a[80:81], v[184:187]// 00000000CDD0: D3D700B8 1EE2A1A8
	v_mfma_i32_16x16x32_i8 v[184:187], a[170:171], a[82:83], v[184:187]// 00000000CDD8: D3D700B8 1EE2A5AA
	v_mfma_i32_16x16x32_i8 v[184:187], a[172:173], a[84:85], v[184:187]// 00000000CDE0: D3D700B8 1EE2A9AC
	ds_read_b128 a[40:43], v2 offset:2560                      // 00000000CDE8: DBFE0A00 28000002
	ds_read_b128 a[44:47], v2 offset:2624                      // 00000000CDF0: DBFE0A40 2C000002
	v_mfma_i32_16x16x32_i8 v[184:187], a[174:175], a[86:87], v[184:187]// 00000000CDF8: D3D700B8 1EE2ADAE
	v_mfma_i32_16x16x32_i8 v[156:159], a[160:161], a[88:89], v[156:159]// 00000000CE00: D3D7009C 1E72B1A0
	v_mfma_i32_16x16x32_i8 v[156:159], a[162:163], a[90:91], v[156:159]// 00000000CE08: D3D7009C 1E72B5A2
	v_mfma_i32_16x16x32_i8 v[156:159], a[164:165], a[92:93], v[156:159]// 00000000CE10: D3D7009C 1E72B9A4
	ds_read_b128 a[48:51], v2 offset:3072                      // 00000000CE18: DBFE0C00 30000002
	ds_read_b128 a[52:55], v2 offset:3136                      // 00000000CE20: DBFE0C40 34000002
	v_mfma_i32_16x16x32_i8 v[156:159], a[166:167], a[94:95], v[156:159]// 00000000CE28: D3D7009C 1E72BDA6
	v_mfma_i32_16x16x32_i8 v[188:191], a[168:169], a[88:89], v[188:191]// 00000000CE30: D3D700BC 1EF2B1A8
	v_mfma_i32_16x16x32_i8 v[188:191], a[170:171], a[90:91], v[188:191]// 00000000CE38: D3D700BC 1EF2B5AA
	v_mfma_i32_16x16x32_i8 v[188:191], a[172:173], a[92:93], v[188:191]// 00000000CE40: D3D700BC 1EF2B9AC
	ds_read_b128 a[56:59], v2 offset:3584                      // 00000000CE48: DBFE0E00 38000002
	ds_read_b128 a[60:63], v2 offset:3648                      // 00000000CE50: DBFE0E40 3C000002
	v_mfma_i32_16x16x32_i8 v[188:191], a[174:175], a[94:95], v[188:191]// 00000000CE58: D3D700BC 1EF2BDAE
	v_mfma_i32_16x16x32_i8 v[160:163], a[160:161], a[96:97], v[160:163]// 00000000CE60: D3D700A0 1E82C1A0
	v_mfma_i32_16x16x32_i8 v[160:163], a[162:163], a[98:99], v[160:163]// 00000000CE68: D3D700A0 1E82C5A2
	v_mfma_i32_16x16x32_i8 v[160:163], a[164:165], a[100:101], v[160:163]// 00000000CE70: D3D700A0 1E82C9A4
	v_mfma_i32_16x16x32_i8 v[160:163], a[166:167], a[102:103], v[160:163]// 00000000CE78: D3D700A0 1E82CDA6
	v_mfma_i32_16x16x32_i8 v[192:195], a[168:169], a[96:97], v[192:195]// 00000000CE80: D3D700C0 1F02C1A8
	v_mfma_i32_16x16x32_i8 v[192:195], a[170:171], a[98:99], v[192:195]// 00000000CE88: D3D700C0 1F02C5AA
	v_mfma_i32_16x16x32_i8 v[192:195], a[172:173], a[100:101], v[192:195]// 00000000CE90: D3D700C0 1F02C9AC
	v_mfma_i32_16x16x32_i8 v[192:195], a[174:175], a[102:103], v[192:195]// 00000000CE98: D3D700C0 1F02CDAE
	v_mfma_i32_16x16x32_i8 v[164:167], a[160:161], a[104:105], v[164:167]// 00000000CEA0: D3D700A4 1E92D1A0
	v_mfma_i32_16x16x32_i8 v[164:167], a[162:163], a[106:107], v[164:167]// 00000000CEA8: D3D700A4 1E92D5A2
	v_mfma_i32_16x16x32_i8 v[164:167], a[164:165], a[108:109], v[164:167]// 00000000CEB0: D3D700A4 1E92D9A4
	v_mfma_i32_16x16x32_i8 v[164:167], a[166:167], a[110:111], v[164:167]// 00000000CEB8: D3D700A4 1E92DDA6
	v_mfma_i32_16x16x32_i8 v[196:199], a[168:169], a[104:105], v[196:199]// 00000000CEC0: D3D700C4 1F12D1A8
	v_mfma_i32_16x16x32_i8 v[196:199], a[170:171], a[106:107], v[196:199]// 00000000CEC8: D3D700C4 1F12D5AA
	v_mfma_i32_16x16x32_i8 v[196:199], a[172:173], a[108:109], v[196:199]// 00000000CED0: D3D700C4 1F12D9AC
	v_mfma_i32_16x16x32_i8 v[196:199], a[174:175], a[110:111], v[196:199]// 00000000CED8: D3D700C4 1F12DDAE
	v_mfma_i32_16x16x32_i8 v[168:171], a[160:161], a[112:113], v[168:171]// 00000000CEE0: D3D700A8 1EA2E1A0
	v_mfma_i32_16x16x32_i8 v[168:171], a[162:163], a[114:115], v[168:171]// 00000000CEE8: D3D700A8 1EA2E5A2
	v_mfma_i32_16x16x32_i8 v[168:171], a[164:165], a[116:117], v[168:171]// 00000000CEF0: D3D700A8 1EA2E9A4
	v_mfma_i32_16x16x32_i8 v[168:171], a[166:167], a[118:119], v[168:171]// 00000000CEF8: D3D700A8 1EA2EDA6
	v_mfma_i32_16x16x32_i8 v[200:203], a[168:169], a[112:113], v[200:203]// 00000000CF00: D3D700C8 1F22E1A8
	v_mfma_i32_16x16x32_i8 v[200:203], a[170:171], a[114:115], v[200:203]// 00000000CF08: D3D700C8 1F22E5AA
	v_mfma_i32_16x16x32_i8 v[200:203], a[172:173], a[116:117], v[200:203]// 00000000CF10: D3D700C8 1F22E9AC
	v_mfma_i32_16x16x32_i8 v[200:203], a[174:175], a[118:119], v[200:203]// 00000000CF18: D3D700C8 1F22EDAE
	v_mfma_i32_16x16x32_i8 v[172:175], a[160:161], a[120:121], v[172:175]// 00000000CF20: D3D700AC 1EB2F1A0
	s_add_u32 s60, 0x180, s80                                  // 00000000CF28: 803C50FF 00000180
	s_cmp_lt_u32 s60, s81                                      // 00000000CF30: BF0A513C
	s_cselect_b32 s57, s57, 0                                  // 00000000CF34: 85398039
	v_mfma_i32_16x16x32_i8 v[172:175], a[162:163], a[122:123], v[172:175]// 00000000CF38: D3D700AC 1EB2F5A2
	s_add_u32 s60, 0x100, s80                                  // 00000000CF40: 803C50FF 00000100
	s_cmp_lt_u32 s60, s81                                      // 00000000CF48: BF0A513C
	s_cselect_b32 s58, s58, 0                                  // 00000000CF4C: 853A803A
	v_mfma_i32_16x16x32_i8 v[172:175], a[164:165], a[124:125], v[172:175]// 00000000CF50: D3D700AC 1EB2F9A4
	s_add_u32 s60, 0x100, s80                                  // 00000000CF58: 803C50FF 00000100
	s_cmp_lt_u32 s60, s81                                      // 00000000CF60: BF0A513C
	s_cselect_b32 s83, s83, 0                                  // 00000000CF64: 85538053
	v_mfma_i32_16x16x32_i8 v[172:175], a[166:167], a[126:127], v[172:175]// 00000000CF68: D3D700AC 1EB2FDA6
	s_add_u32 s24, s58, s24                                    // 00000000CF70: 8018183A
	s_addc_u32 s25, 0, s25                                     // 00000000CF74: 82191980
	v_mfma_i32_16x16x32_i8 v[204:207], a[168:169], a[120:121], v[204:207]// 00000000CF78: D3D700CC 1F32F1A8
	s_add_u32 s20, s57, s20                                    // 00000000CF80: 80141439
	s_addc_u32 s21, 0, s21                                     // 00000000CF84: 82151580
	v_mfma_i32_16x16x32_i8 v[204:207], a[170:171], a[122:123], v[204:207]// 00000000CF88: D3D700CC 1F32F5AA
	s_add_u32 s84, s83, s84                                    // 00000000CF90: 80545453
	s_addc_u32 s85, 0, s85                                     // 00000000CF94: 82555580
	v_mfma_i32_16x16x32_i8 v[204:207], a[172:173], a[124:125], v[204:207]// 00000000CF98: D3D700CC 1F32F9AC
	v_mfma_i32_16x16x32_i8 v[204:207], a[174:175], a[126:127], v[204:207]// 00000000CFA0: D3D700CC 1F32FDAE
	s_addk_i32 s80, 0x80                                       // 00000000CFA8: B7500080
	s_cmp_lt_i32 s80, s81                                      // 00000000CFAC: BF045150
	s_cbranch_scc0 label_2971                                  // 00000000CFB0: BF840001
	s_branch label_2046                                        // 00000000CFB4: BF82F6D5

000000000000cfb8 <label_2971>:
	v_cvt_f32_i32_e32 v80, v80                                 // 00000000CFB8: 7EA00B50
	v_cvt_f32_i32_e32 v81, v81                                 // 00000000CFBC: 7EA20B51
	v_cvt_f32_i32_e32 v82, v82                                 // 00000000CFC0: 7EA40B52
	v_cvt_f32_i32_e32 v83, v83                                 // 00000000CFC4: 7EA60B53
	v_mul_f32_dpp v80, v24, v80 row_newbcast:0 row_mask:0xf bank_mask:0xf// 00000000CFC8: 0AA0A0FA FF015018
	v_mul_f32_dpp v81, v24, v81 row_newbcast:1 row_mask:0xf bank_mask:0xf// 00000000CFD0: 0AA2A2FA FF015118
	v_mul_f32_dpp v82, v24, v82 row_newbcast:2 row_mask:0xf bank_mask:0xf// 00000000CFD8: 0AA4A4FA FF015218
	v_mul_f32_dpp v83, v24, v83 row_newbcast:3 row_mask:0xf bank_mask:0xf// 00000000CFE0: 0AA6A6FA FF015318
	v_cvt_f32_i32_e32 v84, v84                                 // 00000000CFE8: 7EA80B54
	v_cvt_f32_i32_e32 v85, v85                                 // 00000000CFEC: 7EAA0B55
	v_cvt_f32_i32_e32 v86, v86                                 // 00000000CFF0: 7EAC0B56
	v_cvt_f32_i32_e32 v87, v87                                 // 00000000CFF4: 7EAE0B57
	v_mul_f32_dpp v84, v24, v84 row_newbcast:0 row_mask:0xf bank_mask:0xf// 00000000CFF8: 0AA8A8FA FF015018
	v_mul_f32_dpp v85, v24, v85 row_newbcast:1 row_mask:0xf bank_mask:0xf// 00000000D000: 0AAAAAFA FF015118
	v_mul_f32_dpp v86, v24, v86 row_newbcast:2 row_mask:0xf bank_mask:0xf// 00000000D008: 0AACACFA FF015218
	v_mul_f32_dpp v87, v24, v87 row_newbcast:3 row_mask:0xf bank_mask:0xf// 00000000D010: 0AAEAEFA FF015318
	v_cvt_f32_i32_e32 v88, v88                                 // 00000000D018: 7EB00B58
	v_cvt_f32_i32_e32 v89, v89                                 // 00000000D01C: 7EB20B59
	v_cvt_f32_i32_e32 v90, v90                                 // 00000000D020: 7EB40B5A
	v_cvt_f32_i32_e32 v91, v91                                 // 00000000D024: 7EB60B5B
	v_mul_f32_dpp v88, v24, v88 row_newbcast:0 row_mask:0xf bank_mask:0xf// 00000000D028: 0AB0B0FA FF015018
	v_mul_f32_dpp v89, v24, v89 row_newbcast:1 row_mask:0xf bank_mask:0xf// 00000000D030: 0AB2B2FA FF015118
	v_mul_f32_dpp v90, v24, v90 row_newbcast:2 row_mask:0xf bank_mask:0xf// 00000000D038: 0AB4B4FA FF015218
	v_mul_f32_dpp v91, v24, v91 row_newbcast:3 row_mask:0xf bank_mask:0xf// 00000000D040: 0AB6B6FA FF015318
	v_cvt_f32_i32_e32 v92, v92                                 // 00000000D048: 7EB80B5C
	v_cvt_f32_i32_e32 v93, v93                                 // 00000000D04C: 7EBA0B5D
	v_cvt_f32_i32_e32 v94, v94                                 // 00000000D050: 7EBC0B5E
	v_cvt_f32_i32_e32 v95, v95                                 // 00000000D054: 7EBE0B5F
	v_mul_f32_dpp v92, v24, v92 row_newbcast:0 row_mask:0xf bank_mask:0xf// 00000000D058: 0AB8B8FA FF015018
	v_mul_f32_dpp v93, v24, v93 row_newbcast:1 row_mask:0xf bank_mask:0xf// 00000000D060: 0ABABAFA FF015118
	v_mul_f32_dpp v94, v24, v94 row_newbcast:2 row_mask:0xf bank_mask:0xf// 00000000D068: 0ABCBCFA FF015218
	v_mul_f32_dpp v95, v24, v95 row_newbcast:3 row_mask:0xf bank_mask:0xf// 00000000D070: 0ABEBEFA FF015318
	v_cvt_f32_i32_e32 v96, v96                                 // 00000000D078: 7EC00B60
	v_cvt_f32_i32_e32 v97, v97                                 // 00000000D07C: 7EC20B61
	v_cvt_f32_i32_e32 v98, v98                                 // 00000000D080: 7EC40B62
	v_cvt_f32_i32_e32 v99, v99                                 // 00000000D084: 7EC60B63
	v_mul_f32_dpp v96, v24, v96 row_newbcast:0 row_mask:0xf bank_mask:0xf// 00000000D088: 0AC0C0FA FF015018
	v_mul_f32_dpp v97, v24, v97 row_newbcast:1 row_mask:0xf bank_mask:0xf// 00000000D090: 0AC2C2FA FF015118
	v_mul_f32_dpp v98, v24, v98 row_newbcast:2 row_mask:0xf bank_mask:0xf// 00000000D098: 0AC4C4FA FF015218
	v_mul_f32_dpp v99, v24, v99 row_newbcast:3 row_mask:0xf bank_mask:0xf// 00000000D0A0: 0AC6C6FA FF015318
	v_cvt_f32_i32_e32 v100, v100                               // 00000000D0A8: 7EC80B64
	v_cvt_f32_i32_e32 v101, v101                               // 00000000D0AC: 7ECA0B65
	v_cvt_f32_i32_e32 v102, v102                               // 00000000D0B0: 7ECC0B66
	v_cvt_f32_i32_e32 v103, v103                               // 00000000D0B4: 7ECE0B67
	v_mul_f32_dpp v100, v24, v100 row_newbcast:0 row_mask:0xf bank_mask:0xf// 00000000D0B8: 0AC8C8FA FF015018
	v_mul_f32_dpp v101, v24, v101 row_newbcast:1 row_mask:0xf bank_mask:0xf// 00000000D0C0: 0ACACAFA FF015118
	v_mul_f32_dpp v102, v24, v102 row_newbcast:2 row_mask:0xf bank_mask:0xf// 00000000D0C8: 0ACCCCFA FF015218
	v_mul_f32_dpp v103, v24, v103 row_newbcast:3 row_mask:0xf bank_mask:0xf// 00000000D0D0: 0ACECEFA FF015318
	v_cvt_f32_i32_e32 v104, v104                               // 00000000D0D8: 7ED00B68
	v_cvt_f32_i32_e32 v105, v105                               // 00000000D0DC: 7ED20B69
	v_cvt_f32_i32_e32 v106, v106                               // 00000000D0E0: 7ED40B6A
	v_cvt_f32_i32_e32 v107, v107                               // 00000000D0E4: 7ED60B6B
	v_mul_f32_dpp v104, v24, v104 row_newbcast:0 row_mask:0xf bank_mask:0xf// 00000000D0E8: 0AD0D0FA FF015018
	v_mul_f32_dpp v105, v24, v105 row_newbcast:1 row_mask:0xf bank_mask:0xf// 00000000D0F0: 0AD2D2FA FF015118
	v_mul_f32_dpp v106, v24, v106 row_newbcast:2 row_mask:0xf bank_mask:0xf// 00000000D0F8: 0AD4D4FA FF015218
	v_mul_f32_dpp v107, v24, v107 row_newbcast:3 row_mask:0xf bank_mask:0xf// 00000000D100: 0AD6D6FA FF015318
	v_cvt_f32_i32_e32 v108, v108                               // 00000000D108: 7ED80B6C
	v_cvt_f32_i32_e32 v109, v109                               // 00000000D10C: 7EDA0B6D
	v_cvt_f32_i32_e32 v110, v110                               // 00000000D110: 7EDC0B6E
	v_cvt_f32_i32_e32 v111, v111                               // 00000000D114: 7EDE0B6F
	v_mul_f32_dpp v108, v24, v108 row_newbcast:0 row_mask:0xf bank_mask:0xf// 00000000D118: 0AD8D8FA FF015018
	v_mul_f32_dpp v109, v24, v109 row_newbcast:1 row_mask:0xf bank_mask:0xf// 00000000D120: 0ADADAFA FF015118
	v_mul_f32_dpp v110, v24, v110 row_newbcast:2 row_mask:0xf bank_mask:0xf// 00000000D128: 0ADCDCFA FF015218
	v_mul_f32_dpp v111, v24, v111 row_newbcast:3 row_mask:0xf bank_mask:0xf// 00000000D130: 0ADEDEFA FF015318
	v_cvt_f32_i32_e32 v112, v112                               // 00000000D138: 7EE00B70
	v_cvt_f32_i32_e32 v113, v113                               // 00000000D13C: 7EE20B71
	v_cvt_f32_i32_e32 v114, v114                               // 00000000D140: 7EE40B72
	v_cvt_f32_i32_e32 v115, v115                               // 00000000D144: 7EE60B73
	v_mul_f32_dpp v112, v24, v112 row_newbcast:4 row_mask:0xf bank_mask:0xf// 00000000D148: 0AE0E0FA FF015418
	v_mul_f32_dpp v113, v24, v113 row_newbcast:5 row_mask:0xf bank_mask:0xf// 00000000D150: 0AE2E2FA FF015518
	v_mul_f32_dpp v114, v24, v114 row_newbcast:6 row_mask:0xf bank_mask:0xf// 00000000D158: 0AE4E4FA FF015618
	v_mul_f32_dpp v115, v24, v115 row_newbcast:7 row_mask:0xf bank_mask:0xf// 00000000D160: 0AE6E6FA FF015718
	v_cvt_f32_i32_e32 v116, v116                               // 00000000D168: 7EE80B74
	v_cvt_f32_i32_e32 v117, v117                               // 00000000D16C: 7EEA0B75
	v_cvt_f32_i32_e32 v118, v118                               // 00000000D170: 7EEC0B76
	v_cvt_f32_i32_e32 v119, v119                               // 00000000D174: 7EEE0B77
	v_mul_f32_dpp v116, v24, v116 row_newbcast:4 row_mask:0xf bank_mask:0xf// 00000000D178: 0AE8E8FA FF015418
	v_mul_f32_dpp v117, v24, v117 row_newbcast:5 row_mask:0xf bank_mask:0xf// 00000000D180: 0AEAEAFA FF015518
	v_mul_f32_dpp v118, v24, v118 row_newbcast:6 row_mask:0xf bank_mask:0xf// 00000000D188: 0AECECFA FF015618
	v_mul_f32_dpp v119, v24, v119 row_newbcast:7 row_mask:0xf bank_mask:0xf// 00000000D190: 0AEEEEFA FF015718
	v_cvt_f32_i32_e32 v120, v120                               // 00000000D198: 7EF00B78
	v_cvt_f32_i32_e32 v121, v121                               // 00000000D19C: 7EF20B79
	v_cvt_f32_i32_e32 v122, v122                               // 00000000D1A0: 7EF40B7A
	v_cvt_f32_i32_e32 v123, v123                               // 00000000D1A4: 7EF60B7B
	v_mul_f32_dpp v120, v24, v120 row_newbcast:4 row_mask:0xf bank_mask:0xf// 00000000D1A8: 0AF0F0FA FF015418
	v_mul_f32_dpp v121, v24, v121 row_newbcast:5 row_mask:0xf bank_mask:0xf// 00000000D1B0: 0AF2F2FA FF015518
	v_mul_f32_dpp v122, v24, v122 row_newbcast:6 row_mask:0xf bank_mask:0xf// 00000000D1B8: 0AF4F4FA FF015618
	v_mul_f32_dpp v123, v24, v123 row_newbcast:7 row_mask:0xf bank_mask:0xf// 00000000D1C0: 0AF6F6FA FF015718
	v_cvt_f32_i32_e32 v124, v124                               // 00000000D1C8: 7EF80B7C
	v_cvt_f32_i32_e32 v125, v125                               // 00000000D1CC: 7EFA0B7D
	v_cvt_f32_i32_e32 v126, v126                               // 00000000D1D0: 7EFC0B7E
	v_cvt_f32_i32_e32 v127, v127                               // 00000000D1D4: 7EFE0B7F
	v_mul_f32_dpp v124, v24, v124 row_newbcast:4 row_mask:0xf bank_mask:0xf// 00000000D1D8: 0AF8F8FA FF015418
	v_mul_f32_dpp v125, v24, v125 row_newbcast:5 row_mask:0xf bank_mask:0xf// 00000000D1E0: 0AFAFAFA FF015518
	v_mul_f32_dpp v126, v24, v126 row_newbcast:6 row_mask:0xf bank_mask:0xf// 00000000D1E8: 0AFCFCFA FF015618
	v_mul_f32_dpp v127, v24, v127 row_newbcast:7 row_mask:0xf bank_mask:0xf// 00000000D1F0: 0AFEFEFA FF015718
	v_cvt_f32_i32_e32 v128, v128                               // 00000000D1F8: 7F000B80
	v_cvt_f32_i32_e32 v129, v129                               // 00000000D1FC: 7F020B81
	v_cvt_f32_i32_e32 v130, v130                               // 00000000D200: 7F040B82
	v_cvt_f32_i32_e32 v131, v131                               // 00000000D204: 7F060B83
	v_mul_f32_dpp v128, v24, v128 row_newbcast:4 row_mask:0xf bank_mask:0xf// 00000000D208: 0B0100FA FF015418
	v_mul_f32_dpp v129, v24, v129 row_newbcast:5 row_mask:0xf bank_mask:0xf// 00000000D210: 0B0302FA FF015518
	v_mul_f32_dpp v130, v24, v130 row_newbcast:6 row_mask:0xf bank_mask:0xf// 00000000D218: 0B0504FA FF015618
	v_mul_f32_dpp v131, v24, v131 row_newbcast:7 row_mask:0xf bank_mask:0xf// 00000000D220: 0B0706FA FF015718
	v_cvt_f32_i32_e32 v132, v132                               // 00000000D228: 7F080B84
	v_cvt_f32_i32_e32 v133, v133                               // 00000000D22C: 7F0A0B85
	v_cvt_f32_i32_e32 v134, v134                               // 00000000D230: 7F0C0B86
	v_cvt_f32_i32_e32 v135, v135                               // 00000000D234: 7F0E0B87
	v_mul_f32_dpp v132, v24, v132 row_newbcast:4 row_mask:0xf bank_mask:0xf// 00000000D238: 0B0908FA FF015418
	v_mul_f32_dpp v133, v24, v133 row_newbcast:5 row_mask:0xf bank_mask:0xf// 00000000D240: 0B0B0AFA FF015518
	v_mul_f32_dpp v134, v24, v134 row_newbcast:6 row_mask:0xf bank_mask:0xf// 00000000D248: 0B0D0CFA FF015618
	v_mul_f32_dpp v135, v24, v135 row_newbcast:7 row_mask:0xf bank_mask:0xf// 00000000D250: 0B0F0EFA FF015718
	v_cvt_f32_i32_e32 v136, v136                               // 00000000D258: 7F100B88
	v_cvt_f32_i32_e32 v137, v137                               // 00000000D25C: 7F120B89
	v_cvt_f32_i32_e32 v138, v138                               // 00000000D260: 7F140B8A
	v_cvt_f32_i32_e32 v139, v139                               // 00000000D264: 7F160B8B
	v_mul_f32_dpp v136, v24, v136 row_newbcast:4 row_mask:0xf bank_mask:0xf// 00000000D268: 0B1110FA FF015418
	v_mul_f32_dpp v137, v24, v137 row_newbcast:5 row_mask:0xf bank_mask:0xf// 00000000D270: 0B1312FA FF015518
	v_mul_f32_dpp v138, v24, v138 row_newbcast:6 row_mask:0xf bank_mask:0xf// 00000000D278: 0B1514FA FF015618
	v_mul_f32_dpp v139, v24, v139 row_newbcast:7 row_mask:0xf bank_mask:0xf// 00000000D280: 0B1716FA FF015718
	v_cvt_f32_i32_e32 v140, v140                               // 00000000D288: 7F180B8C
	v_cvt_f32_i32_e32 v141, v141                               // 00000000D28C: 7F1A0B8D
	v_cvt_f32_i32_e32 v142, v142                               // 00000000D290: 7F1C0B8E
	v_cvt_f32_i32_e32 v143, v143                               // 00000000D294: 7F1E0B8F
	v_mul_f32_dpp v140, v24, v140 row_newbcast:4 row_mask:0xf bank_mask:0xf// 00000000D298: 0B1918FA FF015418
	v_mul_f32_dpp v141, v24, v141 row_newbcast:5 row_mask:0xf bank_mask:0xf// 00000000D2A0: 0B1B1AFA FF015518
	v_mul_f32_dpp v142, v24, v142 row_newbcast:6 row_mask:0xf bank_mask:0xf// 00000000D2A8: 0B1D1CFA FF015618
	v_mul_f32_dpp v143, v24, v143 row_newbcast:7 row_mask:0xf bank_mask:0xf// 00000000D2B0: 0B1F1EFA FF015718
	v_cvt_f32_i32_e32 v144, v144                               // 00000000D2B8: 7F200B90
	v_cvt_f32_i32_e32 v145, v145                               // 00000000D2BC: 7F220B91
	v_cvt_f32_i32_e32 v146, v146                               // 00000000D2C0: 7F240B92
	v_cvt_f32_i32_e32 v147, v147                               // 00000000D2C4: 7F260B93
	v_mul_f32_dpp v144, v27, v144 row_newbcast:0 row_mask:0xf bank_mask:0xf// 00000000D2C8: 0B2120FA FF01501B
	v_mul_f32_dpp v145, v27, v145 row_newbcast:1 row_mask:0xf bank_mask:0xf// 00000000D2D0: 0B2322FA FF01511B
	v_mul_f32_dpp v146, v27, v146 row_newbcast:2 row_mask:0xf bank_mask:0xf// 00000000D2D8: 0B2524FA FF01521B
	v_mul_f32_dpp v147, v27, v147 row_newbcast:3 row_mask:0xf bank_mask:0xf// 00000000D2E0: 0B2726FA FF01531B
	v_cvt_f32_i32_e32 v148, v148                               // 00000000D2E8: 7F280B94
	v_cvt_f32_i32_e32 v149, v149                               // 00000000D2EC: 7F2A0B95
	v_cvt_f32_i32_e32 v150, v150                               // 00000000D2F0: 7F2C0B96
	v_cvt_f32_i32_e32 v151, v151                               // 00000000D2F4: 7F2E0B97
	v_mul_f32_dpp v148, v27, v148 row_newbcast:0 row_mask:0xf bank_mask:0xf// 00000000D2F8: 0B2928FA FF01501B
	v_mul_f32_dpp v149, v27, v149 row_newbcast:1 row_mask:0xf bank_mask:0xf// 00000000D300: 0B2B2AFA FF01511B
	v_mul_f32_dpp v150, v27, v150 row_newbcast:2 row_mask:0xf bank_mask:0xf// 00000000D308: 0B2D2CFA FF01521B
	v_mul_f32_dpp v151, v27, v151 row_newbcast:3 row_mask:0xf bank_mask:0xf// 00000000D310: 0B2F2EFA FF01531B
	v_cvt_f32_i32_e32 v152, v152                               // 00000000D318: 7F300B98
	v_cvt_f32_i32_e32 v153, v153                               // 00000000D31C: 7F320B99
	v_cvt_f32_i32_e32 v154, v154                               // 00000000D320: 7F340B9A
	v_cvt_f32_i32_e32 v155, v155                               // 00000000D324: 7F360B9B
	v_mul_f32_dpp v152, v27, v152 row_newbcast:0 row_mask:0xf bank_mask:0xf// 00000000D328: 0B3130FA FF01501B
	v_mul_f32_dpp v153, v27, v153 row_newbcast:1 row_mask:0xf bank_mask:0xf// 00000000D330: 0B3332FA FF01511B
	v_mul_f32_dpp v154, v27, v154 row_newbcast:2 row_mask:0xf bank_mask:0xf// 00000000D338: 0B3534FA FF01521B
	v_mul_f32_dpp v155, v27, v155 row_newbcast:3 row_mask:0xf bank_mask:0xf// 00000000D340: 0B3736FA FF01531B
	v_cvt_f32_i32_e32 v156, v156                               // 00000000D348: 7F380B9C
	v_cvt_f32_i32_e32 v157, v157                               // 00000000D34C: 7F3A0B9D
	v_cvt_f32_i32_e32 v158, v158                               // 00000000D350: 7F3C0B9E
	v_cvt_f32_i32_e32 v159, v159                               // 00000000D354: 7F3E0B9F
	v_mul_f32_dpp v156, v27, v156 row_newbcast:0 row_mask:0xf bank_mask:0xf// 00000000D358: 0B3938FA FF01501B
	v_mul_f32_dpp v157, v27, v157 row_newbcast:1 row_mask:0xf bank_mask:0xf// 00000000D360: 0B3B3AFA FF01511B
	v_mul_f32_dpp v158, v27, v158 row_newbcast:2 row_mask:0xf bank_mask:0xf// 00000000D368: 0B3D3CFA FF01521B
	v_mul_f32_dpp v159, v27, v159 row_newbcast:3 row_mask:0xf bank_mask:0xf// 00000000D370: 0B3F3EFA FF01531B
	v_cvt_f32_i32_e32 v160, v160                               // 00000000D378: 7F400BA0
	v_cvt_f32_i32_e32 v161, v161                               // 00000000D37C: 7F420BA1
	v_cvt_f32_i32_e32 v162, v162                               // 00000000D380: 7F440BA2
	v_cvt_f32_i32_e32 v163, v163                               // 00000000D384: 7F460BA3
	v_mul_f32_dpp v160, v27, v160 row_newbcast:0 row_mask:0xf bank_mask:0xf// 00000000D388: 0B4140FA FF01501B
	v_mul_f32_dpp v161, v27, v161 row_newbcast:1 row_mask:0xf bank_mask:0xf// 00000000D390: 0B4342FA FF01511B
	v_mul_f32_dpp v162, v27, v162 row_newbcast:2 row_mask:0xf bank_mask:0xf// 00000000D398: 0B4544FA FF01521B
	v_mul_f32_dpp v163, v27, v163 row_newbcast:3 row_mask:0xf bank_mask:0xf// 00000000D3A0: 0B4746FA FF01531B
	v_cvt_f32_i32_e32 v164, v164                               // 00000000D3A8: 7F480BA4
	v_cvt_f32_i32_e32 v165, v165                               // 00000000D3AC: 7F4A0BA5
	v_cvt_f32_i32_e32 v166, v166                               // 00000000D3B0: 7F4C0BA6
	v_cvt_f32_i32_e32 v167, v167                               // 00000000D3B4: 7F4E0BA7
	v_mul_f32_dpp v164, v27, v164 row_newbcast:0 row_mask:0xf bank_mask:0xf// 00000000D3B8: 0B4948FA FF01501B
	v_mul_f32_dpp v165, v27, v165 row_newbcast:1 row_mask:0xf bank_mask:0xf// 00000000D3C0: 0B4B4AFA FF01511B
	v_mul_f32_dpp v166, v27, v166 row_newbcast:2 row_mask:0xf bank_mask:0xf// 00000000D3C8: 0B4D4CFA FF01521B
	v_mul_f32_dpp v167, v27, v167 row_newbcast:3 row_mask:0xf bank_mask:0xf// 00000000D3D0: 0B4F4EFA FF01531B
	v_cvt_f32_i32_e32 v168, v168                               // 00000000D3D8: 7F500BA8
	v_cvt_f32_i32_e32 v169, v169                               // 00000000D3DC: 7F520BA9
	v_cvt_f32_i32_e32 v170, v170                               // 00000000D3E0: 7F540BAA
	v_cvt_f32_i32_e32 v171, v171                               // 00000000D3E4: 7F560BAB
	v_mul_f32_dpp v168, v27, v168 row_newbcast:0 row_mask:0xf bank_mask:0xf// 00000000D3E8: 0B5150FA FF01501B
	v_mul_f32_dpp v169, v27, v169 row_newbcast:1 row_mask:0xf bank_mask:0xf// 00000000D3F0: 0B5352FA FF01511B
	v_mul_f32_dpp v170, v27, v170 row_newbcast:2 row_mask:0xf bank_mask:0xf// 00000000D3F8: 0B5554FA FF01521B
	v_mul_f32_dpp v171, v27, v171 row_newbcast:3 row_mask:0xf bank_mask:0xf// 00000000D400: 0B5756FA FF01531B
	v_cvt_f32_i32_e32 v172, v172                               // 00000000D408: 7F580BAC
	v_cvt_f32_i32_e32 v173, v173                               // 00000000D40C: 7F5A0BAD
	v_cvt_f32_i32_e32 v174, v174                               // 00000000D410: 7F5C0BAE
	v_cvt_f32_i32_e32 v175, v175                               // 00000000D414: 7F5E0BAF
	v_mul_f32_dpp v172, v27, v172 row_newbcast:0 row_mask:0xf bank_mask:0xf// 00000000D418: 0B5958FA FF01501B
	v_mul_f32_dpp v173, v27, v173 row_newbcast:1 row_mask:0xf bank_mask:0xf// 00000000D420: 0B5B5AFA FF01511B
	v_mul_f32_dpp v174, v27, v174 row_newbcast:2 row_mask:0xf bank_mask:0xf// 00000000D428: 0B5D5CFA FF01521B
	v_mul_f32_dpp v175, v27, v175 row_newbcast:3 row_mask:0xf bank_mask:0xf// 00000000D430: 0B5F5EFA FF01531B
	v_cvt_f32_i32_e32 v176, v176                               // 00000000D438: 7F600BB0
	v_cvt_f32_i32_e32 v177, v177                               // 00000000D43C: 7F620BB1
	v_cvt_f32_i32_e32 v178, v178                               // 00000000D440: 7F640BB2
	v_cvt_f32_i32_e32 v179, v179                               // 00000000D444: 7F660BB3
	v_mul_f32_dpp v176, v27, v176 row_newbcast:4 row_mask:0xf bank_mask:0xf// 00000000D448: 0B6160FA FF01541B
	v_mul_f32_dpp v177, v27, v177 row_newbcast:5 row_mask:0xf bank_mask:0xf// 00000000D450: 0B6362FA FF01551B
	v_mul_f32_dpp v178, v27, v178 row_newbcast:6 row_mask:0xf bank_mask:0xf// 00000000D458: 0B6564FA FF01561B
	v_mul_f32_dpp v179, v27, v179 row_newbcast:7 row_mask:0xf bank_mask:0xf// 00000000D460: 0B6766FA FF01571B
	v_cvt_f32_i32_e32 v180, v180                               // 00000000D468: 7F680BB4
	v_cvt_f32_i32_e32 v181, v181                               // 00000000D46C: 7F6A0BB5
	v_cvt_f32_i32_e32 v182, v182                               // 00000000D470: 7F6C0BB6
	v_cvt_f32_i32_e32 v183, v183                               // 00000000D474: 7F6E0BB7
	v_mul_f32_dpp v180, v27, v180 row_newbcast:4 row_mask:0xf bank_mask:0xf// 00000000D478: 0B6968FA FF01541B
	v_mul_f32_dpp v181, v27, v181 row_newbcast:5 row_mask:0xf bank_mask:0xf// 00000000D480: 0B6B6AFA FF01551B
	v_mul_f32_dpp v182, v27, v182 row_newbcast:6 row_mask:0xf bank_mask:0xf// 00000000D488: 0B6D6CFA FF01561B
	v_mul_f32_dpp v183, v27, v183 row_newbcast:7 row_mask:0xf bank_mask:0xf// 00000000D490: 0B6F6EFA FF01571B
	v_cvt_f32_i32_e32 v184, v184                               // 00000000D498: 7F700BB8
	v_cvt_f32_i32_e32 v185, v185                               // 00000000D49C: 7F720BB9
	v_cvt_f32_i32_e32 v186, v186                               // 00000000D4A0: 7F740BBA
	v_cvt_f32_i32_e32 v187, v187                               // 00000000D4A4: 7F760BBB
	v_mul_f32_dpp v184, v27, v184 row_newbcast:4 row_mask:0xf bank_mask:0xf// 00000000D4A8: 0B7170FA FF01541B
	v_mul_f32_dpp v185, v27, v185 row_newbcast:5 row_mask:0xf bank_mask:0xf// 00000000D4B0: 0B7372FA FF01551B
	v_mul_f32_dpp v186, v27, v186 row_newbcast:6 row_mask:0xf bank_mask:0xf// 00000000D4B8: 0B7574FA FF01561B
	v_mul_f32_dpp v187, v27, v187 row_newbcast:7 row_mask:0xf bank_mask:0xf// 00000000D4C0: 0B7776FA FF01571B
	v_cvt_f32_i32_e32 v188, v188                               // 00000000D4C8: 7F780BBC
	v_cvt_f32_i32_e32 v189, v189                               // 00000000D4CC: 7F7A0BBD
	v_cvt_f32_i32_e32 v190, v190                               // 00000000D4D0: 7F7C0BBE
	v_cvt_f32_i32_e32 v191, v191                               // 00000000D4D4: 7F7E0BBF
	v_mul_f32_dpp v188, v27, v188 row_newbcast:4 row_mask:0xf bank_mask:0xf// 00000000D4D8: 0B7978FA FF01541B
	v_mul_f32_dpp v189, v27, v189 row_newbcast:5 row_mask:0xf bank_mask:0xf// 00000000D4E0: 0B7B7AFA FF01551B
	v_mul_f32_dpp v190, v27, v190 row_newbcast:6 row_mask:0xf bank_mask:0xf// 00000000D4E8: 0B7D7CFA FF01561B
	v_mul_f32_dpp v191, v27, v191 row_newbcast:7 row_mask:0xf bank_mask:0xf// 00000000D4F0: 0B7F7EFA FF01571B
	v_cvt_f32_i32_e32 v192, v192                               // 00000000D4F8: 7F800BC0
	v_cvt_f32_i32_e32 v193, v193                               // 00000000D4FC: 7F820BC1
	v_cvt_f32_i32_e32 v194, v194                               // 00000000D500: 7F840BC2
	v_cvt_f32_i32_e32 v195, v195                               // 00000000D504: 7F860BC3
	v_mul_f32_dpp v192, v27, v192 row_newbcast:4 row_mask:0xf bank_mask:0xf// 00000000D508: 0B8180FA FF01541B
	v_mul_f32_dpp v193, v27, v193 row_newbcast:5 row_mask:0xf bank_mask:0xf// 00000000D510: 0B8382FA FF01551B
	v_mul_f32_dpp v194, v27, v194 row_newbcast:6 row_mask:0xf bank_mask:0xf// 00000000D518: 0B8584FA FF01561B
	v_mul_f32_dpp v195, v27, v195 row_newbcast:7 row_mask:0xf bank_mask:0xf// 00000000D520: 0B8786FA FF01571B
	v_cvt_f32_i32_e32 v196, v196                               // 00000000D528: 7F880BC4
	v_cvt_f32_i32_e32 v197, v197                               // 00000000D52C: 7F8A0BC5
	v_cvt_f32_i32_e32 v198, v198                               // 00000000D530: 7F8C0BC6
	v_cvt_f32_i32_e32 v199, v199                               // 00000000D534: 7F8E0BC7
	v_mul_f32_dpp v196, v27, v196 row_newbcast:4 row_mask:0xf bank_mask:0xf// 00000000D538: 0B8988FA FF01541B
	v_mul_f32_dpp v197, v27, v197 row_newbcast:5 row_mask:0xf bank_mask:0xf// 00000000D540: 0B8B8AFA FF01551B
	v_mul_f32_dpp v198, v27, v198 row_newbcast:6 row_mask:0xf bank_mask:0xf// 00000000D548: 0B8D8CFA FF01561B
	v_mul_f32_dpp v199, v27, v199 row_newbcast:7 row_mask:0xf bank_mask:0xf// 00000000D550: 0B8F8EFA FF01571B
	v_cvt_f32_i32_e32 v200, v200                               // 00000000D558: 7F900BC8
	v_cvt_f32_i32_e32 v201, v201                               // 00000000D55C: 7F920BC9
	v_cvt_f32_i32_e32 v202, v202                               // 00000000D560: 7F940BCA
	v_cvt_f32_i32_e32 v203, v203                               // 00000000D564: 7F960BCB
	v_mul_f32_dpp v200, v27, v200 row_newbcast:4 row_mask:0xf bank_mask:0xf// 00000000D568: 0B9190FA FF01541B
	v_mul_f32_dpp v201, v27, v201 row_newbcast:5 row_mask:0xf bank_mask:0xf// 00000000D570: 0B9392FA FF01551B
	v_mul_f32_dpp v202, v27, v202 row_newbcast:6 row_mask:0xf bank_mask:0xf// 00000000D578: 0B9594FA FF01561B
	v_mul_f32_dpp v203, v27, v203 row_newbcast:7 row_mask:0xf bank_mask:0xf// 00000000D580: 0B9796FA FF01571B
	v_cvt_f32_i32_e32 v204, v204                               // 00000000D588: 7F980BCC
	v_cvt_f32_i32_e32 v205, v205                               // 00000000D58C: 7F9A0BCD
	v_cvt_f32_i32_e32 v206, v206                               // 00000000D590: 7F9C0BCE
	v_cvt_f32_i32_e32 v207, v207                               // 00000000D594: 7F9E0BCF
	v_mul_f32_dpp v204, v27, v204 row_newbcast:4 row_mask:0xf bank_mask:0xf// 00000000D598: 0B9998FA FF01541B
	v_mul_f32_dpp v205, v27, v205 row_newbcast:5 row_mask:0xf bank_mask:0xf// 00000000D5A0: 0B9B9AFA FF01551B
	v_mul_f32_dpp v206, v27, v206 row_newbcast:6 row_mask:0xf bank_mask:0xf// 00000000D5A8: 0B9D9CFA FF01561B
	v_mul_f32_dpp v207, v27, v207 row_newbcast:7 row_mask:0xf bank_mask:0xf// 00000000D5B0: 0B9F9EFA FF01571B
	v_mov_b32_e32 v4, v38                                      // 00000000D5B8: 7E080326
	v_mov_b32_e32 v5, v4                                       // 00000000D5BC: 7E0A0304
	v_pk_mul_f32 v[80:81], v[4:5], v[80:81]                    // 00000000D5C0: D3B14050 1802A104
	v_pk_mul_f32 v[144:145], v[4:5], v[144:145]                // 00000000D5C8: D3B14090 18032104
	v_pk_mul_f32 v[82:83], v[4:5], v[82:83]                    // 00000000D5D0: D3B14052 1802A504
	v_pk_mul_f32 v[146:147], v[4:5], v[146:147]                // 00000000D5D8: D3B14092 18032504
	v_pk_mul_f32 v[112:113], v[4:5], v[112:113]                // 00000000D5E0: D3B14070 1802E104
	v_pk_mul_f32 v[176:177], v[4:5], v[176:177]                // 00000000D5E8: D3B140B0 18036104
	v_pk_mul_f32 v[114:115], v[4:5], v[114:115]                // 00000000D5F0: D3B14072 1802E504
	v_pk_mul_f32 v[178:179], v[4:5], v[178:179]                // 00000000D5F8: D3B140B2 18036504
	v_mov_b32_e32 v4, v39                                      // 00000000D600: 7E080327
	v_mov_b32_e32 v5, v4                                       // 00000000D604: 7E0A0304
	v_pk_mul_f32 v[84:85], v[4:5], v[84:85]                    // 00000000D608: D3B14054 1802A904
	v_pk_mul_f32 v[148:149], v[4:5], v[148:149]                // 00000000D610: D3B14094 18032904
	v_pk_mul_f32 v[86:87], v[4:5], v[86:87]                    // 00000000D618: D3B14056 1802AD04
	v_pk_mul_f32 v[150:151], v[4:5], v[150:151]                // 00000000D620: D3B14096 18032D04
	v_pk_mul_f32 v[116:117], v[4:5], v[116:117]                // 00000000D628: D3B14074 1802E904
	v_pk_mul_f32 v[180:181], v[4:5], v[180:181]                // 00000000D630: D3B140B4 18036904
	v_pk_mul_f32 v[118:119], v[4:5], v[118:119]                // 00000000D638: D3B14076 1802ED04
	v_pk_mul_f32 v[182:183], v[4:5], v[182:183]                // 00000000D640: D3B140B6 18036D04
	v_mov_b32_e32 v4, v40                                      // 00000000D648: 7E080328
	v_mov_b32_e32 v5, v4                                       // 00000000D64C: 7E0A0304
	v_pk_mul_f32 v[88:89], v[4:5], v[88:89]                    // 00000000D650: D3B14058 1802B104
	v_pk_mul_f32 v[152:153], v[4:5], v[152:153]                // 00000000D658: D3B14098 18033104
	v_pk_mul_f32 v[90:91], v[4:5], v[90:91]                    // 00000000D660: D3B1405A 1802B504
	v_pk_mul_f32 v[154:155], v[4:5], v[154:155]                // 00000000D668: D3B1409A 18033504
	v_pk_mul_f32 v[120:121], v[4:5], v[120:121]                // 00000000D670: D3B14078 1802F104
	v_pk_mul_f32 v[184:185], v[4:5], v[184:185]                // 00000000D678: D3B140B8 18037104
	v_pk_mul_f32 v[122:123], v[4:5], v[122:123]                // 00000000D680: D3B1407A 1802F504
	v_pk_mul_f32 v[186:187], v[4:5], v[186:187]                // 00000000D688: D3B140BA 18037504
	v_mov_b32_e32 v4, v41                                      // 00000000D690: 7E080329
	v_mov_b32_e32 v5, v4                                       // 00000000D694: 7E0A0304
	v_pk_mul_f32 v[92:93], v[4:5], v[92:93]                    // 00000000D698: D3B1405C 1802B904
	v_pk_mul_f32 v[156:157], v[4:5], v[156:157]                // 00000000D6A0: D3B1409C 18033904
	v_pk_mul_f32 v[94:95], v[4:5], v[94:95]                    // 00000000D6A8: D3B1405E 1802BD04
	v_pk_mul_f32 v[158:159], v[4:5], v[158:159]                // 00000000D6B0: D3B1409E 18033D04
	v_pk_mul_f32 v[124:125], v[4:5], v[124:125]                // 00000000D6B8: D3B1407C 1802F904
	v_pk_mul_f32 v[188:189], v[4:5], v[188:189]                // 00000000D6C0: D3B140BC 18037904
	v_pk_mul_f32 v[126:127], v[4:5], v[126:127]                // 00000000D6C8: D3B1407E 1802FD04
	v_pk_mul_f32 v[190:191], v[4:5], v[190:191]                // 00000000D6D0: D3B140BE 18037D04
	v_mov_b32_e32 v4, v42                                      // 00000000D6D8: 7E08032A
	v_mov_b32_e32 v5, v4                                       // 00000000D6DC: 7E0A0304
	v_pk_mul_f32 v[96:97], v[4:5], v[96:97]                    // 00000000D6E0: D3B14060 1802C104
	v_pk_mul_f32 v[160:161], v[4:5], v[160:161]                // 00000000D6E8: D3B140A0 18034104
	v_pk_mul_f32 v[98:99], v[4:5], v[98:99]                    // 00000000D6F0: D3B14062 1802C504
	v_pk_mul_f32 v[162:163], v[4:5], v[162:163]                // 00000000D6F8: D3B140A2 18034504
	v_pk_mul_f32 v[128:129], v[4:5], v[128:129]                // 00000000D700: D3B14080 18030104
	v_pk_mul_f32 v[192:193], v[4:5], v[192:193]                // 00000000D708: D3B140C0 18038104
	v_pk_mul_f32 v[130:131], v[4:5], v[130:131]                // 00000000D710: D3B14082 18030504
	v_pk_mul_f32 v[194:195], v[4:5], v[194:195]                // 00000000D718: D3B140C2 18038504
	v_mov_b32_e32 v4, v43                                      // 00000000D720: 7E08032B
	v_mov_b32_e32 v5, v4                                       // 00000000D724: 7E0A0304
	v_pk_mul_f32 v[100:101], v[4:5], v[100:101]                // 00000000D728: D3B14064 1802C904
	v_pk_mul_f32 v[164:165], v[4:5], v[164:165]                // 00000000D730: D3B140A4 18034904
	v_pk_mul_f32 v[102:103], v[4:5], v[102:103]                // 00000000D738: D3B14066 1802CD04
	v_pk_mul_f32 v[166:167], v[4:5], v[166:167]                // 00000000D740: D3B140A6 18034D04
	v_pk_mul_f32 v[132:133], v[4:5], v[132:133]                // 00000000D748: D3B14084 18030904
	v_pk_mul_f32 v[196:197], v[4:5], v[196:197]                // 00000000D750: D3B140C4 18038904
	v_pk_mul_f32 v[134:135], v[4:5], v[134:135]                // 00000000D758: D3B14086 18030D04
	v_pk_mul_f32 v[198:199], v[4:5], v[198:199]                // 00000000D760: D3B140C6 18038D04
	v_mov_b32_e32 v4, v44                                      // 00000000D768: 7E08032C
	v_mov_b32_e32 v5, v4                                       // 00000000D76C: 7E0A0304
	v_pk_mul_f32 v[104:105], v[4:5], v[104:105]                // 00000000D770: D3B14068 1802D104
	v_pk_mul_f32 v[168:169], v[4:5], v[168:169]                // 00000000D778: D3B140A8 18035104
	v_pk_mul_f32 v[106:107], v[4:5], v[106:107]                // 00000000D780: D3B1406A 1802D504
	v_pk_mul_f32 v[170:171], v[4:5], v[170:171]                // 00000000D788: D3B140AA 18035504
	v_pk_mul_f32 v[136:137], v[4:5], v[136:137]                // 00000000D790: D3B14088 18031104
	v_pk_mul_f32 v[200:201], v[4:5], v[200:201]                // 00000000D798: D3B140C8 18039104
	v_pk_mul_f32 v[138:139], v[4:5], v[138:139]                // 00000000D7A0: D3B1408A 18031504
	v_pk_mul_f32 v[202:203], v[4:5], v[202:203]                // 00000000D7A8: D3B140CA 18039504
	v_mov_b32_e32 v4, v45                                      // 00000000D7B0: 7E08032D
	v_mov_b32_e32 v5, v4                                       // 00000000D7B4: 7E0A0304
	v_pk_mul_f32 v[108:109], v[4:5], v[108:109]                // 00000000D7B8: D3B1406C 1802D904
	v_pk_mul_f32 v[172:173], v[4:5], v[172:173]                // 00000000D7C0: D3B140AC 18035904
	v_pk_mul_f32 v[110:111], v[4:5], v[110:111]                // 00000000D7C8: D3B1406E 1802DD04
	v_pk_mul_f32 v[174:175], v[4:5], v[174:175]                // 00000000D7D0: D3B140AE 18035D04
	v_pk_mul_f32 v[140:141], v[4:5], v[140:141]                // 00000000D7D8: D3B1408C 18031904
	v_pk_mul_f32 v[204:205], v[4:5], v[204:205]                // 00000000D7E0: D3B140CC 18039904
	v_pk_mul_f32 v[142:143], v[4:5], v[142:143]                // 00000000D7E8: D3B1408E 18031D04
	v_pk_mul_f32 v[206:207], v[4:5], v[206:207]                // 00000000D7F0: D3B140CE 18039D04
	s_cmp_eq_u32 s88, 0                                        // 00000000D7F8: BF068058
	s_cbranch_scc0 label_34E4                                  // 00000000D7FC: BF840961
	s_cmp_eq_u32 s89, 0                                        // 00000000D800: BF068059
	s_cbranch_scc1 label_2E0A                                  // 00000000D804: BF850285
	v_mov_b32_e32 v8, v1                                       // 00000000D808: 7E100301
	v_mov_b32_e32 v9, v1                                       // 00000000D80C: 7E120301
	s_mov_b32 s60, s6                                          // 00000000D810: BEBC0006
	s_mov_b32 s61, s6                                          // 00000000D814: BEBD0006
	v_pk_mul_f32 v[4:5], v[80:81], v[80:81]                    // 00000000D818: D3B14004 1802A150
	v_pk_mul_f32 v[6:7], v[82:83], v[82:83]                    // 00000000D820: D3B14006 1802A552
	v_pk_fma_f32 v[4:5], v[4:5], s[78:79], v[8:9]              // 00000000D828: D3B04004 1C209D04
	v_pk_fma_f32 v[6:7], v[6:7], s[78:79], v[8:9]              // 00000000D830: D3B04006 1C209D06
	v_pk_mul_f32 v[4:5], v[4:5], v[80:81]                      // 00000000D838: D3B14004 1802A104
	v_pk_mul_f32 v[6:7], v[6:7], v[82:83]                      // 00000000D840: D3B14006 1802A506
	v_pk_mul_f32 v[4:5], v[4:5], s[60:61]                      // 00000000D848: D3B14004 18007904
	v_pk_mul_f32 v[6:7], v[6:7], s[60:61]                      // 00000000D850: D3B14006 18007906
	v_exp_f32_e32 v4, v4                                       // 00000000D858: 7E084104
	v_exp_f32_e32 v5, v5                                       // 00000000D85C: 7E0A4105
	v_exp_f32_e32 v6, v6                                       // 00000000D860: 7E0C4106
	v_exp_f32_e32 v7, v7                                       // 00000000D864: 7E0E4107
	v_add_f32_e64 v4, v4, 1.0                                  // 00000000D868: D1010004 0001E504
	v_add_f32_e64 v5, v5, 1.0                                  // 00000000D870: D1010005 0001E505
	v_add_f32_e64 v6, v6, 1.0                                  // 00000000D878: D1010006 0001E506
	v_add_f32_e64 v7, v7, 1.0                                  // 00000000D880: D1010007 0001E507
	v_rcp_f32_e32 v4, v4                                       // 00000000D888: 7E084504
	v_rcp_f32_e32 v5, v5                                       // 00000000D88C: 7E0A4505
	v_rcp_f32_e32 v6, v6                                       // 00000000D890: 7E0C4506
	v_rcp_f32_e32 v7, v7                                       // 00000000D894: 7E0E4507
	v_mul_f32_e32 v80, v80, v4                                 // 00000000D898: 0AA00950
	v_mul_f32_e32 v81, v81, v5                                 // 00000000D89C: 0AA20B51
	v_mul_f32_e32 v82, v82, v6                                 // 00000000D8A0: 0AA40D52
	v_mul_f32_e32 v83, v83, v7                                 // 00000000D8A4: 0AA60F53
	v_mul_f32_e32 v80, v80, v144                               // 00000000D8A8: 0AA12150
	v_mul_f32_e32 v81, v81, v145                               // 00000000D8AC: 0AA32351
	v_mul_f32_e32 v82, v82, v146                               // 00000000D8B0: 0AA52552
	v_mul_f32_e32 v83, v83, v147                               // 00000000D8B4: 0AA72753
	v_pk_mul_f32 v[4:5], v[84:85], v[84:85]                    // 00000000D8B8: D3B14004 1802A954
	v_pk_mul_f32 v[6:7], v[86:87], v[86:87]                    // 00000000D8C0: D3B14006 1802AD56
	v_pk_fma_f32 v[4:5], v[4:5], s[78:79], v[8:9]              // 00000000D8C8: D3B04004 1C209D04
	v_pk_fma_f32 v[6:7], v[6:7], s[78:79], v[8:9]              // 00000000D8D0: D3B04006 1C209D06
	v_pk_mul_f32 v[4:5], v[4:5], v[84:85]                      // 00000000D8D8: D3B14004 1802A904
	v_pk_mul_f32 v[6:7], v[6:7], v[86:87]                      // 00000000D8E0: D3B14006 1802AD06
	v_pk_mul_f32 v[4:5], v[4:5], s[60:61]                      // 00000000D8E8: D3B14004 18007904
	v_pk_mul_f32 v[6:7], v[6:7], s[60:61]                      // 00000000D8F0: D3B14006 18007906
	v_exp_f32_e32 v4, v4                                       // 00000000D8F8: 7E084104
	v_exp_f32_e32 v5, v5                                       // 00000000D8FC: 7E0A4105
	v_exp_f32_e32 v6, v6                                       // 00000000D900: 7E0C4106
	v_exp_f32_e32 v7, v7                                       // 00000000D904: 7E0E4107
	v_add_f32_e64 v4, v4, 1.0                                  // 00000000D908: D1010004 0001E504
	v_add_f32_e64 v5, v5, 1.0                                  // 00000000D910: D1010005 0001E505
	v_add_f32_e64 v6, v6, 1.0                                  // 00000000D918: D1010006 0001E506
	v_add_f32_e64 v7, v7, 1.0                                  // 00000000D920: D1010007 0001E507
	v_rcp_f32_e32 v4, v4                                       // 00000000D928: 7E084504
	v_rcp_f32_e32 v5, v5                                       // 00000000D92C: 7E0A4505
	v_rcp_f32_e32 v6, v6                                       // 00000000D930: 7E0C4506
	v_rcp_f32_e32 v7, v7                                       // 00000000D934: 7E0E4507
	v_mul_f32_e32 v84, v84, v4                                 // 00000000D938: 0AA80954
	v_mul_f32_e32 v85, v85, v5                                 // 00000000D93C: 0AAA0B55
	v_mul_f32_e32 v86, v86, v6                                 // 00000000D940: 0AAC0D56
	v_mul_f32_e32 v87, v87, v7                                 // 00000000D944: 0AAE0F57
	v_mul_f32_e32 v84, v84, v148                               // 00000000D948: 0AA92954
	v_mul_f32_e32 v85, v85, v149                               // 00000000D94C: 0AAB2B55
	v_mul_f32_e32 v86, v86, v150                               // 00000000D950: 0AAD2D56
	v_mul_f32_e32 v87, v87, v151                               // 00000000D954: 0AAF2F57
	v_pk_mul_f32 v[4:5], v[88:89], v[88:89]                    // 00000000D958: D3B14004 1802B158
	v_pk_mul_f32 v[6:7], v[90:91], v[90:91]                    // 00000000D960: D3B14006 1802B55A
	v_pk_fma_f32 v[4:5], v[4:5], s[78:79], v[8:9]              // 00000000D968: D3B04004 1C209D04
	v_pk_fma_f32 v[6:7], v[6:7], s[78:79], v[8:9]              // 00000000D970: D3B04006 1C209D06
	v_pk_mul_f32 v[4:5], v[4:5], v[88:89]                      // 00000000D978: D3B14004 1802B104
	v_pk_mul_f32 v[6:7], v[6:7], v[90:91]                      // 00000000D980: D3B14006 1802B506
	v_pk_mul_f32 v[4:5], v[4:5], s[60:61]                      // 00000000D988: D3B14004 18007904
	v_pk_mul_f32 v[6:7], v[6:7], s[60:61]                      // 00000000D990: D3B14006 18007906
	v_exp_f32_e32 v4, v4                                       // 00000000D998: 7E084104
	v_exp_f32_e32 v5, v5                                       // 00000000D99C: 7E0A4105
	v_exp_f32_e32 v6, v6                                       // 00000000D9A0: 7E0C4106
	v_exp_f32_e32 v7, v7                                       // 00000000D9A4: 7E0E4107
	v_add_f32_e64 v4, v4, 1.0                                  // 00000000D9A8: D1010004 0001E504
	v_add_f32_e64 v5, v5, 1.0                                  // 00000000D9B0: D1010005 0001E505
	v_add_f32_e64 v6, v6, 1.0                                  // 00000000D9B8: D1010006 0001E506
	v_add_f32_e64 v7, v7, 1.0                                  // 00000000D9C0: D1010007 0001E507
	v_rcp_f32_e32 v4, v4                                       // 00000000D9C8: 7E084504
	v_rcp_f32_e32 v5, v5                                       // 00000000D9CC: 7E0A4505
	v_rcp_f32_e32 v6, v6                                       // 00000000D9D0: 7E0C4506
	v_rcp_f32_e32 v7, v7                                       // 00000000D9D4: 7E0E4507
	v_mul_f32_e32 v88, v88, v4                                 // 00000000D9D8: 0AB00958
	v_mul_f32_e32 v89, v89, v5                                 // 00000000D9DC: 0AB20B59
	v_mul_f32_e32 v90, v90, v6                                 // 00000000D9E0: 0AB40D5A
	v_mul_f32_e32 v91, v91, v7                                 // 00000000D9E4: 0AB60F5B
	v_mul_f32_e32 v88, v88, v152                               // 00000000D9E8: 0AB13158
	v_mul_f32_e32 v89, v89, v153                               // 00000000D9EC: 0AB33359
	v_mul_f32_e32 v90, v90, v154                               // 00000000D9F0: 0AB5355A
	v_mul_f32_e32 v91, v91, v155                               // 00000000D9F4: 0AB7375B
	v_pk_mul_f32 v[4:5], v[92:93], v[92:93]                    // 00000000D9F8: D3B14004 1802B95C
	v_pk_mul_f32 v[6:7], v[94:95], v[94:95]                    // 00000000DA00: D3B14006 1802BD5E
	v_pk_fma_f32 v[4:5], v[4:5], s[78:79], v[8:9]              // 00000000DA08: D3B04004 1C209D04
	v_pk_fma_f32 v[6:7], v[6:7], s[78:79], v[8:9]              // 00000000DA10: D3B04006 1C209D06
	v_pk_mul_f32 v[4:5], v[4:5], v[92:93]                      // 00000000DA18: D3B14004 1802B904
	v_pk_mul_f32 v[6:7], v[6:7], v[94:95]                      // 00000000DA20: D3B14006 1802BD06
	v_pk_mul_f32 v[4:5], v[4:5], s[60:61]                      // 00000000DA28: D3B14004 18007904
	v_pk_mul_f32 v[6:7], v[6:7], s[60:61]                      // 00000000DA30: D3B14006 18007906
	v_exp_f32_e32 v4, v4                                       // 00000000DA38: 7E084104
	v_exp_f32_e32 v5, v5                                       // 00000000DA3C: 7E0A4105
	v_exp_f32_e32 v6, v6                                       // 00000000DA40: 7E0C4106
	v_exp_f32_e32 v7, v7                                       // 00000000DA44: 7E0E4107
	v_add_f32_e64 v4, v4, 1.0                                  // 00000000DA48: D1010004 0001E504
	v_add_f32_e64 v5, v5, 1.0                                  // 00000000DA50: D1010005 0001E505
	v_add_f32_e64 v6, v6, 1.0                                  // 00000000DA58: D1010006 0001E506
	v_add_f32_e64 v7, v7, 1.0                                  // 00000000DA60: D1010007 0001E507
	v_rcp_f32_e32 v4, v4                                       // 00000000DA68: 7E084504
	v_rcp_f32_e32 v5, v5                                       // 00000000DA6C: 7E0A4505
	v_rcp_f32_e32 v6, v6                                       // 00000000DA70: 7E0C4506
	v_rcp_f32_e32 v7, v7                                       // 00000000DA74: 7E0E4507
	v_mul_f32_e32 v92, v92, v4                                 // 00000000DA78: 0AB8095C
	v_mul_f32_e32 v93, v93, v5                                 // 00000000DA7C: 0ABA0B5D
	v_mul_f32_e32 v94, v94, v6                                 // 00000000DA80: 0ABC0D5E
	v_mul_f32_e32 v95, v95, v7                                 // 00000000DA84: 0ABE0F5F
	v_mul_f32_e32 v92, v92, v156                               // 00000000DA88: 0AB9395C
	v_mul_f32_e32 v93, v93, v157                               // 00000000DA8C: 0ABB3B5D
	v_mul_f32_e32 v94, v94, v158                               // 00000000DA90: 0ABD3D5E
	v_mul_f32_e32 v95, v95, v159                               // 00000000DA94: 0ABF3F5F
	v_pk_mul_f32 v[4:5], v[96:97], v[96:97]                    // 00000000DA98: D3B14004 1802C160
	v_pk_mul_f32 v[6:7], v[98:99], v[98:99]                    // 00000000DAA0: D3B14006 1802C562
	v_pk_fma_f32 v[4:5], v[4:5], s[78:79], v[8:9]              // 00000000DAA8: D3B04004 1C209D04
	v_pk_fma_f32 v[6:7], v[6:7], s[78:79], v[8:9]              // 00000000DAB0: D3B04006 1C209D06
	v_pk_mul_f32 v[4:5], v[4:5], v[96:97]                      // 00000000DAB8: D3B14004 1802C104
	v_pk_mul_f32 v[6:7], v[6:7], v[98:99]                      // 00000000DAC0: D3B14006 1802C506
	v_pk_mul_f32 v[4:5], v[4:5], s[60:61]                      // 00000000DAC8: D3B14004 18007904
	v_pk_mul_f32 v[6:7], v[6:7], s[60:61]                      // 00000000DAD0: D3B14006 18007906
	v_exp_f32_e32 v4, v4                                       // 00000000DAD8: 7E084104
	v_exp_f32_e32 v5, v5                                       // 00000000DADC: 7E0A4105
	v_exp_f32_e32 v6, v6                                       // 00000000DAE0: 7E0C4106
	v_exp_f32_e32 v7, v7                                       // 00000000DAE4: 7E0E4107
	v_add_f32_e64 v4, v4, 1.0                                  // 00000000DAE8: D1010004 0001E504
	v_add_f32_e64 v5, v5, 1.0                                  // 00000000DAF0: D1010005 0001E505
	v_add_f32_e64 v6, v6, 1.0                                  // 00000000DAF8: D1010006 0001E506
	v_add_f32_e64 v7, v7, 1.0                                  // 00000000DB00: D1010007 0001E507
	v_rcp_f32_e32 v4, v4                                       // 00000000DB08: 7E084504
	v_rcp_f32_e32 v5, v5                                       // 00000000DB0C: 7E0A4505
	v_rcp_f32_e32 v6, v6                                       // 00000000DB10: 7E0C4506
	v_rcp_f32_e32 v7, v7                                       // 00000000DB14: 7E0E4507
	v_mul_f32_e32 v96, v96, v4                                 // 00000000DB18: 0AC00960
	v_mul_f32_e32 v97, v97, v5                                 // 00000000DB1C: 0AC20B61
	v_mul_f32_e32 v98, v98, v6                                 // 00000000DB20: 0AC40D62
	v_mul_f32_e32 v99, v99, v7                                 // 00000000DB24: 0AC60F63
	v_mul_f32_e32 v96, v96, v160                               // 00000000DB28: 0AC14160
	v_mul_f32_e32 v97, v97, v161                               // 00000000DB2C: 0AC34361
	v_mul_f32_e32 v98, v98, v162                               // 00000000DB30: 0AC54562
	v_mul_f32_e32 v99, v99, v163                               // 00000000DB34: 0AC74763
	v_pk_mul_f32 v[4:5], v[100:101], v[100:101]                // 00000000DB38: D3B14004 1802C964
	v_pk_mul_f32 v[6:7], v[102:103], v[102:103]                // 00000000DB40: D3B14006 1802CD66
	v_pk_fma_f32 v[4:5], v[4:5], s[78:79], v[8:9]              // 00000000DB48: D3B04004 1C209D04
	v_pk_fma_f32 v[6:7], v[6:7], s[78:79], v[8:9]              // 00000000DB50: D3B04006 1C209D06
	v_pk_mul_f32 v[4:5], v[4:5], v[100:101]                    // 00000000DB58: D3B14004 1802C904
	v_pk_mul_f32 v[6:7], v[6:7], v[102:103]                    // 00000000DB60: D3B14006 1802CD06
	v_pk_mul_f32 v[4:5], v[4:5], s[60:61]                      // 00000000DB68: D3B14004 18007904
	v_pk_mul_f32 v[6:7], v[6:7], s[60:61]                      // 00000000DB70: D3B14006 18007906
	v_exp_f32_e32 v4, v4                                       // 00000000DB78: 7E084104
	v_exp_f32_e32 v5, v5                                       // 00000000DB7C: 7E0A4105
	v_exp_f32_e32 v6, v6                                       // 00000000DB80: 7E0C4106
	v_exp_f32_e32 v7, v7                                       // 00000000DB84: 7E0E4107
	v_add_f32_e64 v4, v4, 1.0                                  // 00000000DB88: D1010004 0001E504
	v_add_f32_e64 v5, v5, 1.0                                  // 00000000DB90: D1010005 0001E505
	v_add_f32_e64 v6, v6, 1.0                                  // 00000000DB98: D1010006 0001E506
	v_add_f32_e64 v7, v7, 1.0                                  // 00000000DBA0: D1010007 0001E507
	v_rcp_f32_e32 v4, v4                                       // 00000000DBA8: 7E084504
	v_rcp_f32_e32 v5, v5                                       // 00000000DBAC: 7E0A4505
	v_rcp_f32_e32 v6, v6                                       // 00000000DBB0: 7E0C4506
	v_rcp_f32_e32 v7, v7                                       // 00000000DBB4: 7E0E4507
	v_mul_f32_e32 v100, v100, v4                               // 00000000DBB8: 0AC80964
	v_mul_f32_e32 v101, v101, v5                               // 00000000DBBC: 0ACA0B65
	v_mul_f32_e32 v102, v102, v6                               // 00000000DBC0: 0ACC0D66
	v_mul_f32_e32 v103, v103, v7                               // 00000000DBC4: 0ACE0F67
	v_mul_f32_e32 v100, v100, v164                             // 00000000DBC8: 0AC94964
	v_mul_f32_e32 v101, v101, v165                             // 00000000DBCC: 0ACB4B65
	v_mul_f32_e32 v102, v102, v166                             // 00000000DBD0: 0ACD4D66
	v_mul_f32_e32 v103, v103, v167                             // 00000000DBD4: 0ACF4F67
	v_pk_mul_f32 v[4:5], v[104:105], v[104:105]                // 00000000DBD8: D3B14004 1802D168
	v_pk_mul_f32 v[6:7], v[106:107], v[106:107]                // 00000000DBE0: D3B14006 1802D56A
	v_pk_fma_f32 v[4:5], v[4:5], s[78:79], v[8:9]              // 00000000DBE8: D3B04004 1C209D04
	v_pk_fma_f32 v[6:7], v[6:7], s[78:79], v[8:9]              // 00000000DBF0: D3B04006 1C209D06
	v_pk_mul_f32 v[4:5], v[4:5], v[104:105]                    // 00000000DBF8: D3B14004 1802D104
	v_pk_mul_f32 v[6:7], v[6:7], v[106:107]                    // 00000000DC00: D3B14006 1802D506
	v_pk_mul_f32 v[4:5], v[4:5], s[60:61]                      // 00000000DC08: D3B14004 18007904
	v_pk_mul_f32 v[6:7], v[6:7], s[60:61]                      // 00000000DC10: D3B14006 18007906
	v_exp_f32_e32 v4, v4                                       // 00000000DC18: 7E084104
	v_exp_f32_e32 v5, v5                                       // 00000000DC1C: 7E0A4105
	v_exp_f32_e32 v6, v6                                       // 00000000DC20: 7E0C4106
	v_exp_f32_e32 v7, v7                                       // 00000000DC24: 7E0E4107
	v_add_f32_e64 v4, v4, 1.0                                  // 00000000DC28: D1010004 0001E504
	v_add_f32_e64 v5, v5, 1.0                                  // 00000000DC30: D1010005 0001E505
	v_add_f32_e64 v6, v6, 1.0                                  // 00000000DC38: D1010006 0001E506
	v_add_f32_e64 v7, v7, 1.0                                  // 00000000DC40: D1010007 0001E507
	v_rcp_f32_e32 v4, v4                                       // 00000000DC48: 7E084504
	v_rcp_f32_e32 v5, v5                                       // 00000000DC4C: 7E0A4505
	v_rcp_f32_e32 v6, v6                                       // 00000000DC50: 7E0C4506
	v_rcp_f32_e32 v7, v7                                       // 00000000DC54: 7E0E4507
	v_mul_f32_e32 v104, v104, v4                               // 00000000DC58: 0AD00968
	v_mul_f32_e32 v105, v105, v5                               // 00000000DC5C: 0AD20B69
	v_mul_f32_e32 v106, v106, v6                               // 00000000DC60: 0AD40D6A
	v_mul_f32_e32 v107, v107, v7                               // 00000000DC64: 0AD60F6B
	v_mul_f32_e32 v104, v104, v168                             // 00000000DC68: 0AD15168
	v_mul_f32_e32 v105, v105, v169                             // 00000000DC6C: 0AD35369
	v_mul_f32_e32 v106, v106, v170                             // 00000000DC70: 0AD5556A
	v_mul_f32_e32 v107, v107, v171                             // 00000000DC74: 0AD7576B
	v_pk_mul_f32 v[4:5], v[108:109], v[108:109]                // 00000000DC78: D3B14004 1802D96C
	v_pk_mul_f32 v[6:7], v[110:111], v[110:111]                // 00000000DC80: D3B14006 1802DD6E
	v_pk_fma_f32 v[4:5], v[4:5], s[78:79], v[8:9]              // 00000000DC88: D3B04004 1C209D04
	v_pk_fma_f32 v[6:7], v[6:7], s[78:79], v[8:9]              // 00000000DC90: D3B04006 1C209D06
	v_pk_mul_f32 v[4:5], v[4:5], v[108:109]                    // 00000000DC98: D3B14004 1802D904
	v_pk_mul_f32 v[6:7], v[6:7], v[110:111]                    // 00000000DCA0: D3B14006 1802DD06
	v_pk_mul_f32 v[4:5], v[4:5], s[60:61]                      // 00000000DCA8: D3B14004 18007904
	v_pk_mul_f32 v[6:7], v[6:7], s[60:61]                      // 00000000DCB0: D3B14006 18007906
	v_exp_f32_e32 v4, v4                                       // 00000000DCB8: 7E084104
	v_exp_f32_e32 v5, v5                                       // 00000000DCBC: 7E0A4105
	v_exp_f32_e32 v6, v6                                       // 00000000DCC0: 7E0C4106
	v_exp_f32_e32 v7, v7                                       // 00000000DCC4: 7E0E4107
	v_add_f32_e64 v4, v4, 1.0                                  // 00000000DCC8: D1010004 0001E504
	v_add_f32_e64 v5, v5, 1.0                                  // 00000000DCD0: D1010005 0001E505
	v_add_f32_e64 v6, v6, 1.0                                  // 00000000DCD8: D1010006 0001E506
	v_add_f32_e64 v7, v7, 1.0                                  // 00000000DCE0: D1010007 0001E507
	v_rcp_f32_e32 v4, v4                                       // 00000000DCE8: 7E084504
	v_rcp_f32_e32 v5, v5                                       // 00000000DCEC: 7E0A4505
	v_rcp_f32_e32 v6, v6                                       // 00000000DCF0: 7E0C4506
	v_rcp_f32_e32 v7, v7                                       // 00000000DCF4: 7E0E4507
	v_mul_f32_e32 v108, v108, v4                               // 00000000DCF8: 0AD8096C
	v_mul_f32_e32 v109, v109, v5                               // 00000000DCFC: 0ADA0B6D
	v_mul_f32_e32 v110, v110, v6                               // 00000000DD00: 0ADC0D6E
	v_mul_f32_e32 v111, v111, v7                               // 00000000DD04: 0ADE0F6F
	v_mul_f32_e32 v108, v108, v172                             // 00000000DD08: 0AD9596C
	v_mul_f32_e32 v109, v109, v173                             // 00000000DD0C: 0ADB5B6D
	v_mul_f32_e32 v110, v110, v174                             // 00000000DD10: 0ADD5D6E
	v_mul_f32_e32 v111, v111, v175                             // 00000000DD14: 0ADF5F6F
	v_pk_mul_f32 v[4:5], v[112:113], v[112:113]                // 00000000DD18: D3B14004 1802E170
	v_pk_mul_f32 v[6:7], v[114:115], v[114:115]                // 00000000DD20: D3B14006 1802E572
	v_pk_fma_f32 v[4:5], v[4:5], s[78:79], v[8:9]              // 00000000DD28: D3B04004 1C209D04
	v_pk_fma_f32 v[6:7], v[6:7], s[78:79], v[8:9]              // 00000000DD30: D3B04006 1C209D06
	v_pk_mul_f32 v[4:5], v[4:5], v[112:113]                    // 00000000DD38: D3B14004 1802E104
	v_pk_mul_f32 v[6:7], v[6:7], v[114:115]                    // 00000000DD40: D3B14006 1802E506
	v_pk_mul_f32 v[4:5], v[4:5], s[60:61]                      // 00000000DD48: D3B14004 18007904
	v_pk_mul_f32 v[6:7], v[6:7], s[60:61]                      // 00000000DD50: D3B14006 18007906
	v_exp_f32_e32 v4, v4                                       // 00000000DD58: 7E084104
	v_exp_f32_e32 v5, v5                                       // 00000000DD5C: 7E0A4105
	v_exp_f32_e32 v6, v6                                       // 00000000DD60: 7E0C4106
	v_exp_f32_e32 v7, v7                                       // 00000000DD64: 7E0E4107
	v_add_f32_e64 v4, v4, 1.0                                  // 00000000DD68: D1010004 0001E504
	v_add_f32_e64 v5, v5, 1.0                                  // 00000000DD70: D1010005 0001E505
	v_add_f32_e64 v6, v6, 1.0                                  // 00000000DD78: D1010006 0001E506
	v_add_f32_e64 v7, v7, 1.0                                  // 00000000DD80: D1010007 0001E507
	v_rcp_f32_e32 v4, v4                                       // 00000000DD88: 7E084504
	v_rcp_f32_e32 v5, v5                                       // 00000000DD8C: 7E0A4505
	v_rcp_f32_e32 v6, v6                                       // 00000000DD90: 7E0C4506
	v_rcp_f32_e32 v7, v7                                       // 00000000DD94: 7E0E4507
	v_mul_f32_e32 v112, v112, v4                               // 00000000DD98: 0AE00970
	v_mul_f32_e32 v113, v113, v5                               // 00000000DD9C: 0AE20B71
	v_mul_f32_e32 v114, v114, v6                               // 00000000DDA0: 0AE40D72
	v_mul_f32_e32 v115, v115, v7                               // 00000000DDA4: 0AE60F73
	v_mul_f32_e32 v112, v112, v176                             // 00000000DDA8: 0AE16170
	v_mul_f32_e32 v113, v113, v177                             // 00000000DDAC: 0AE36371
	v_mul_f32_e32 v114, v114, v178                             // 00000000DDB0: 0AE56572
	v_mul_f32_e32 v115, v115, v179                             // 00000000DDB4: 0AE76773
	v_pk_mul_f32 v[4:5], v[116:117], v[116:117]                // 00000000DDB8: D3B14004 1802E974
	v_pk_mul_f32 v[6:7], v[118:119], v[118:119]                // 00000000DDC0: D3B14006 1802ED76
	v_pk_fma_f32 v[4:5], v[4:5], s[78:79], v[8:9]              // 00000000DDC8: D3B04004 1C209D04
	v_pk_fma_f32 v[6:7], v[6:7], s[78:79], v[8:9]              // 00000000DDD0: D3B04006 1C209D06
	v_pk_mul_f32 v[4:5], v[4:5], v[116:117]                    // 00000000DDD8: D3B14004 1802E904
	v_pk_mul_f32 v[6:7], v[6:7], v[118:119]                    // 00000000DDE0: D3B14006 1802ED06
	v_pk_mul_f32 v[4:5], v[4:5], s[60:61]                      // 00000000DDE8: D3B14004 18007904
	v_pk_mul_f32 v[6:7], v[6:7], s[60:61]                      // 00000000DDF0: D3B14006 18007906
	v_exp_f32_e32 v4, v4                                       // 00000000DDF8: 7E084104
	v_exp_f32_e32 v5, v5                                       // 00000000DDFC: 7E0A4105
	v_exp_f32_e32 v6, v6                                       // 00000000DE00: 7E0C4106
	v_exp_f32_e32 v7, v7                                       // 00000000DE04: 7E0E4107
	v_add_f32_e64 v4, v4, 1.0                                  // 00000000DE08: D1010004 0001E504
	v_add_f32_e64 v5, v5, 1.0                                  // 00000000DE10: D1010005 0001E505
	v_add_f32_e64 v6, v6, 1.0                                  // 00000000DE18: D1010006 0001E506
	v_add_f32_e64 v7, v7, 1.0                                  // 00000000DE20: D1010007 0001E507
	v_rcp_f32_e32 v4, v4                                       // 00000000DE28: 7E084504
	v_rcp_f32_e32 v5, v5                                       // 00000000DE2C: 7E0A4505
	v_rcp_f32_e32 v6, v6                                       // 00000000DE30: 7E0C4506
	v_rcp_f32_e32 v7, v7                                       // 00000000DE34: 7E0E4507
	v_mul_f32_e32 v116, v116, v4                               // 00000000DE38: 0AE80974
	v_mul_f32_e32 v117, v117, v5                               // 00000000DE3C: 0AEA0B75
	v_mul_f32_e32 v118, v118, v6                               // 00000000DE40: 0AEC0D76
	v_mul_f32_e32 v119, v119, v7                               // 00000000DE44: 0AEE0F77
	v_mul_f32_e32 v116, v116, v180                             // 00000000DE48: 0AE96974
	v_mul_f32_e32 v117, v117, v181                             // 00000000DE4C: 0AEB6B75
	v_mul_f32_e32 v118, v118, v182                             // 00000000DE50: 0AED6D76
	v_mul_f32_e32 v119, v119, v183                             // 00000000DE54: 0AEF6F77
	v_pk_mul_f32 v[4:5], v[120:121], v[120:121]                // 00000000DE58: D3B14004 1802F178
	v_pk_mul_f32 v[6:7], v[122:123], v[122:123]                // 00000000DE60: D3B14006 1802F57A
	v_pk_fma_f32 v[4:5], v[4:5], s[78:79], v[8:9]              // 00000000DE68: D3B04004 1C209D04
	v_pk_fma_f32 v[6:7], v[6:7], s[78:79], v[8:9]              // 00000000DE70: D3B04006 1C209D06
	v_pk_mul_f32 v[4:5], v[4:5], v[120:121]                    // 00000000DE78: D3B14004 1802F104
	v_pk_mul_f32 v[6:7], v[6:7], v[122:123]                    // 00000000DE80: D3B14006 1802F506
	v_pk_mul_f32 v[4:5], v[4:5], s[60:61]                      // 00000000DE88: D3B14004 18007904
	v_pk_mul_f32 v[6:7], v[6:7], s[60:61]                      // 00000000DE90: D3B14006 18007906
	v_exp_f32_e32 v4, v4                                       // 00000000DE98: 7E084104
	v_exp_f32_e32 v5, v5                                       // 00000000DE9C: 7E0A4105
	v_exp_f32_e32 v6, v6                                       // 00000000DEA0: 7E0C4106
	v_exp_f32_e32 v7, v7                                       // 00000000DEA4: 7E0E4107
	v_add_f32_e64 v4, v4, 1.0                                  // 00000000DEA8: D1010004 0001E504
	v_add_f32_e64 v5, v5, 1.0                                  // 00000000DEB0: D1010005 0001E505
	v_add_f32_e64 v6, v6, 1.0                                  // 00000000DEB8: D1010006 0001E506
	v_add_f32_e64 v7, v7, 1.0                                  // 00000000DEC0: D1010007 0001E507
	v_rcp_f32_e32 v4, v4                                       // 00000000DEC8: 7E084504
	v_rcp_f32_e32 v5, v5                                       // 00000000DECC: 7E0A4505
	v_rcp_f32_e32 v6, v6                                       // 00000000DED0: 7E0C4506
	v_rcp_f32_e32 v7, v7                                       // 00000000DED4: 7E0E4507
	v_mul_f32_e32 v120, v120, v4                               // 00000000DED8: 0AF00978
	v_mul_f32_e32 v121, v121, v5                               // 00000000DEDC: 0AF20B79
	v_mul_f32_e32 v122, v122, v6                               // 00000000DEE0: 0AF40D7A
	v_mul_f32_e32 v123, v123, v7                               // 00000000DEE4: 0AF60F7B
	v_mul_f32_e32 v120, v120, v184                             // 00000000DEE8: 0AF17178
	v_mul_f32_e32 v121, v121, v185                             // 00000000DEEC: 0AF37379
	v_mul_f32_e32 v122, v122, v186                             // 00000000DEF0: 0AF5757A
	v_mul_f32_e32 v123, v123, v187                             // 00000000DEF4: 0AF7777B
	v_pk_mul_f32 v[4:5], v[124:125], v[124:125]                // 00000000DEF8: D3B14004 1802F97C
	v_pk_mul_f32 v[6:7], v[126:127], v[126:127]                // 00000000DF00: D3B14006 1802FD7E
	v_pk_fma_f32 v[4:5], v[4:5], s[78:79], v[8:9]              // 00000000DF08: D3B04004 1C209D04
	v_pk_fma_f32 v[6:7], v[6:7], s[78:79], v[8:9]              // 00000000DF10: D3B04006 1C209D06
	v_pk_mul_f32 v[4:5], v[4:5], v[124:125]                    // 00000000DF18: D3B14004 1802F904
	v_pk_mul_f32 v[6:7], v[6:7], v[126:127]                    // 00000000DF20: D3B14006 1802FD06
	v_pk_mul_f32 v[4:5], v[4:5], s[60:61]                      // 00000000DF28: D3B14004 18007904
	v_pk_mul_f32 v[6:7], v[6:7], s[60:61]                      // 00000000DF30: D3B14006 18007906
	v_exp_f32_e32 v4, v4                                       // 00000000DF38: 7E084104
	v_exp_f32_e32 v5, v5                                       // 00000000DF3C: 7E0A4105
	v_exp_f32_e32 v6, v6                                       // 00000000DF40: 7E0C4106
	v_exp_f32_e32 v7, v7                                       // 00000000DF44: 7E0E4107
	v_add_f32_e64 v4, v4, 1.0                                  // 00000000DF48: D1010004 0001E504
	v_add_f32_e64 v5, v5, 1.0                                  // 00000000DF50: D1010005 0001E505
	v_add_f32_e64 v6, v6, 1.0                                  // 00000000DF58: D1010006 0001E506
	v_add_f32_e64 v7, v7, 1.0                                  // 00000000DF60: D1010007 0001E507
	v_rcp_f32_e32 v4, v4                                       // 00000000DF68: 7E084504
	v_rcp_f32_e32 v5, v5                                       // 00000000DF6C: 7E0A4505
	v_rcp_f32_e32 v6, v6                                       // 00000000DF70: 7E0C4506
	v_rcp_f32_e32 v7, v7                                       // 00000000DF74: 7E0E4507
	v_mul_f32_e32 v124, v124, v4                               // 00000000DF78: 0AF8097C
	v_mul_f32_e32 v125, v125, v5                               // 00000000DF7C: 0AFA0B7D
	v_mul_f32_e32 v126, v126, v6                               // 00000000DF80: 0AFC0D7E
	v_mul_f32_e32 v127, v127, v7                               // 00000000DF84: 0AFE0F7F
	v_mul_f32_e32 v124, v124, v188                             // 00000000DF88: 0AF9797C
	v_mul_f32_e32 v125, v125, v189                             // 00000000DF8C: 0AFB7B7D
	v_mul_f32_e32 v126, v126, v190                             // 00000000DF90: 0AFD7D7E
	v_mul_f32_e32 v127, v127, v191                             // 00000000DF94: 0AFF7F7F
	v_pk_mul_f32 v[4:5], v[128:129], v[128:129]                // 00000000DF98: D3B14004 18030180
	v_pk_mul_f32 v[6:7], v[130:131], v[130:131]                // 00000000DFA0: D3B14006 18030582
	v_pk_fma_f32 v[4:5], v[4:5], s[78:79], v[8:9]              // 00000000DFA8: D3B04004 1C209D04
	v_pk_fma_f32 v[6:7], v[6:7], s[78:79], v[8:9]              // 00000000DFB0: D3B04006 1C209D06
	v_pk_mul_f32 v[4:5], v[4:5], v[128:129]                    // 00000000DFB8: D3B14004 18030104
	v_pk_mul_f32 v[6:7], v[6:7], v[130:131]                    // 00000000DFC0: D3B14006 18030506
	v_pk_mul_f32 v[4:5], v[4:5], s[60:61]                      // 00000000DFC8: D3B14004 18007904
	v_pk_mul_f32 v[6:7], v[6:7], s[60:61]                      // 00000000DFD0: D3B14006 18007906
	v_exp_f32_e32 v4, v4                                       // 00000000DFD8: 7E084104
	v_exp_f32_e32 v5, v5                                       // 00000000DFDC: 7E0A4105
	v_exp_f32_e32 v6, v6                                       // 00000000DFE0: 7E0C4106
	v_exp_f32_e32 v7, v7                                       // 00000000DFE4: 7E0E4107
	v_add_f32_e64 v4, v4, 1.0                                  // 00000000DFE8: D1010004 0001E504
	v_add_f32_e64 v5, v5, 1.0                                  // 00000000DFF0: D1010005 0001E505
	v_add_f32_e64 v6, v6, 1.0                                  // 00000000DFF8: D1010006 0001E506
	v_add_f32_e64 v7, v7, 1.0                                  // 00000000E000: D1010007 0001E507
	v_rcp_f32_e32 v4, v4                                       // 00000000E008: 7E084504
	v_rcp_f32_e32 v5, v5                                       // 00000000E00C: 7E0A4505
	v_rcp_f32_e32 v6, v6                                       // 00000000E010: 7E0C4506
	v_rcp_f32_e32 v7, v7                                       // 00000000E014: 7E0E4507
	v_mul_f32_e32 v128, v128, v4                               // 00000000E018: 0B000980
	v_mul_f32_e32 v129, v129, v5                               // 00000000E01C: 0B020B81
	v_mul_f32_e32 v130, v130, v6                               // 00000000E020: 0B040D82
	v_mul_f32_e32 v131, v131, v7                               // 00000000E024: 0B060F83
	v_mul_f32_e32 v128, v128, v192                             // 00000000E028: 0B018180
	v_mul_f32_e32 v129, v129, v193                             // 00000000E02C: 0B038381
	v_mul_f32_e32 v130, v130, v194                             // 00000000E030: 0B058582
	v_mul_f32_e32 v131, v131, v195                             // 00000000E034: 0B078783
	v_pk_mul_f32 v[4:5], v[132:133], v[132:133]                // 00000000E038: D3B14004 18030984
	v_pk_mul_f32 v[6:7], v[134:135], v[134:135]                // 00000000E040: D3B14006 18030D86
	v_pk_fma_f32 v[4:5], v[4:5], s[78:79], v[8:9]              // 00000000E048: D3B04004 1C209D04
	v_pk_fma_f32 v[6:7], v[6:7], s[78:79], v[8:9]              // 00000000E050: D3B04006 1C209D06
	v_pk_mul_f32 v[4:5], v[4:5], v[132:133]                    // 00000000E058: D3B14004 18030904
	v_pk_mul_f32 v[6:7], v[6:7], v[134:135]                    // 00000000E060: D3B14006 18030D06
	v_pk_mul_f32 v[4:5], v[4:5], s[60:61]                      // 00000000E068: D3B14004 18007904
	v_pk_mul_f32 v[6:7], v[6:7], s[60:61]                      // 00000000E070: D3B14006 18007906
	v_exp_f32_e32 v4, v4                                       // 00000000E078: 7E084104
	v_exp_f32_e32 v5, v5                                       // 00000000E07C: 7E0A4105
	v_exp_f32_e32 v6, v6                                       // 00000000E080: 7E0C4106
	v_exp_f32_e32 v7, v7                                       // 00000000E084: 7E0E4107
	v_add_f32_e64 v4, v4, 1.0                                  // 00000000E088: D1010004 0001E504
	v_add_f32_e64 v5, v5, 1.0                                  // 00000000E090: D1010005 0001E505
	v_add_f32_e64 v6, v6, 1.0                                  // 00000000E098: D1010006 0001E506
	v_add_f32_e64 v7, v7, 1.0                                  // 00000000E0A0: D1010007 0001E507
	v_rcp_f32_e32 v4, v4                                       // 00000000E0A8: 7E084504
	v_rcp_f32_e32 v5, v5                                       // 00000000E0AC: 7E0A4505
	v_rcp_f32_e32 v6, v6                                       // 00000000E0B0: 7E0C4506
	v_rcp_f32_e32 v7, v7                                       // 00000000E0B4: 7E0E4507
	v_mul_f32_e32 v132, v132, v4                               // 00000000E0B8: 0B080984
	v_mul_f32_e32 v133, v133, v5                               // 00000000E0BC: 0B0A0B85
	v_mul_f32_e32 v134, v134, v6                               // 00000000E0C0: 0B0C0D86
	v_mul_f32_e32 v135, v135, v7                               // 00000000E0C4: 0B0E0F87
	v_mul_f32_e32 v132, v132, v196                             // 00000000E0C8: 0B098984
	v_mul_f32_e32 v133, v133, v197                             // 00000000E0CC: 0B0B8B85
	v_mul_f32_e32 v134, v134, v198                             // 00000000E0D0: 0B0D8D86
	v_mul_f32_e32 v135, v135, v199                             // 00000000E0D4: 0B0F8F87
	v_pk_mul_f32 v[4:5], v[136:137], v[136:137]                // 00000000E0D8: D3B14004 18031188
	v_pk_mul_f32 v[6:7], v[138:139], v[138:139]                // 00000000E0E0: D3B14006 1803158A
	v_pk_fma_f32 v[4:5], v[4:5], s[78:79], v[8:9]              // 00000000E0E8: D3B04004 1C209D04
	v_pk_fma_f32 v[6:7], v[6:7], s[78:79], v[8:9]              // 00000000E0F0: D3B04006 1C209D06
	v_pk_mul_f32 v[4:5], v[4:5], v[136:137]                    // 00000000E0F8: D3B14004 18031104
	v_pk_mul_f32 v[6:7], v[6:7], v[138:139]                    // 00000000E100: D3B14006 18031506
	v_pk_mul_f32 v[4:5], v[4:5], s[60:61]                      // 00000000E108: D3B14004 18007904
	v_pk_mul_f32 v[6:7], v[6:7], s[60:61]                      // 00000000E110: D3B14006 18007906
	v_exp_f32_e32 v4, v4                                       // 00000000E118: 7E084104
	v_exp_f32_e32 v5, v5                                       // 00000000E11C: 7E0A4105
	v_exp_f32_e32 v6, v6                                       // 00000000E120: 7E0C4106
	v_exp_f32_e32 v7, v7                                       // 00000000E124: 7E0E4107
	v_add_f32_e64 v4, v4, 1.0                                  // 00000000E128: D1010004 0001E504
	v_add_f32_e64 v5, v5, 1.0                                  // 00000000E130: D1010005 0001E505
	v_add_f32_e64 v6, v6, 1.0                                  // 00000000E138: D1010006 0001E506
	v_add_f32_e64 v7, v7, 1.0                                  // 00000000E140: D1010007 0001E507
	v_rcp_f32_e32 v4, v4                                       // 00000000E148: 7E084504
	v_rcp_f32_e32 v5, v5                                       // 00000000E14C: 7E0A4505
	v_rcp_f32_e32 v6, v6                                       // 00000000E150: 7E0C4506
	v_rcp_f32_e32 v7, v7                                       // 00000000E154: 7E0E4507
	v_mul_f32_e32 v136, v136, v4                               // 00000000E158: 0B100988
	v_mul_f32_e32 v137, v137, v5                               // 00000000E15C: 0B120B89
	v_mul_f32_e32 v138, v138, v6                               // 00000000E160: 0B140D8A
	v_mul_f32_e32 v139, v139, v7                               // 00000000E164: 0B160F8B
	v_mul_f32_e32 v136, v136, v200                             // 00000000E168: 0B119188
	v_mul_f32_e32 v137, v137, v201                             // 00000000E16C: 0B139389
	v_mul_f32_e32 v138, v138, v202                             // 00000000E170: 0B15958A
	v_mul_f32_e32 v139, v139, v203                             // 00000000E174: 0B17978B
	v_pk_mul_f32 v[4:5], v[140:141], v[140:141]                // 00000000E178: D3B14004 1803198C
	v_pk_mul_f32 v[6:7], v[142:143], v[142:143]                // 00000000E180: D3B14006 18031D8E
	v_pk_fma_f32 v[4:5], v[4:5], s[78:79], v[8:9]              // 00000000E188: D3B04004 1C209D04
	v_pk_fma_f32 v[6:7], v[6:7], s[78:79], v[8:9]              // 00000000E190: D3B04006 1C209D06
	v_pk_mul_f32 v[4:5], v[4:5], v[140:141]                    // 00000000E198: D3B14004 18031904
	v_pk_mul_f32 v[6:7], v[6:7], v[142:143]                    // 00000000E1A0: D3B14006 18031D06
	v_pk_mul_f32 v[4:5], v[4:5], s[60:61]                      // 00000000E1A8: D3B14004 18007904
	v_pk_mul_f32 v[6:7], v[6:7], s[60:61]                      // 00000000E1B0: D3B14006 18007906
	v_exp_f32_e32 v4, v4                                       // 00000000E1B8: 7E084104
	v_exp_f32_e32 v5, v5                                       // 00000000E1BC: 7E0A4105
	v_exp_f32_e32 v6, v6                                       // 00000000E1C0: 7E0C4106
	v_exp_f32_e32 v7, v7                                       // 00000000E1C4: 7E0E4107
	v_add_f32_e64 v4, v4, 1.0                                  // 00000000E1C8: D1010004 0001E504
	v_add_f32_e64 v5, v5, 1.0                                  // 00000000E1D0: D1010005 0001E505
	v_add_f32_e64 v6, v6, 1.0                                  // 00000000E1D8: D1010006 0001E506
	v_add_f32_e64 v7, v7, 1.0                                  // 00000000E1E0: D1010007 0001E507
	v_rcp_f32_e32 v4, v4                                       // 00000000E1E8: 7E084504
	v_rcp_f32_e32 v5, v5                                       // 00000000E1EC: 7E0A4505
	v_rcp_f32_e32 v6, v6                                       // 00000000E1F0: 7E0C4506
	v_rcp_f32_e32 v7, v7                                       // 00000000E1F4: 7E0E4507
	v_mul_f32_e32 v140, v140, v4                               // 00000000E1F8: 0B18098C
	v_mul_f32_e32 v141, v141, v5                               // 00000000E1FC: 0B1A0B8D
	v_mul_f32_e32 v142, v142, v6                               // 00000000E200: 0B1C0D8E
	v_mul_f32_e32 v143, v143, v7                               // 00000000E204: 0B1E0F8F
	v_mul_f32_e32 v140, v140, v204                             // 00000000E208: 0B19998C
	v_mul_f32_e32 v141, v141, v205                             // 00000000E20C: 0B1B9B8D
	v_mul_f32_e32 v142, v142, v206                             // 00000000E210: 0B1D9D8E
	v_mul_f32_e32 v143, v143, v207                             // 00000000E214: 0B1F9F8F
	s_branch label_300A                                        // 00000000E218: BF820200

000000000000e21c <label_2E0A>:
	v_mul_f32_e64 v4, -v80, s6                                 // 00000000E21C: D1050004 20000D50
	v_mul_f32_e64 v5, -v81, s6                                 // 00000000E224: D1050005 20000D51
	v_mul_f32_e64 v6, -v82, s6                                 // 00000000E22C: D1050006 20000D52
	v_mul_f32_e64 v7, -v83, s6                                 // 00000000E234: D1050007 20000D53
	v_exp_f32_e32 v4, v4                                       // 00000000E23C: 7E084104
	v_exp_f32_e32 v5, v5                                       // 00000000E240: 7E0A4105
	v_exp_f32_e32 v6, v6                                       // 00000000E244: 7E0C4106
	v_exp_f32_e32 v7, v7                                       // 00000000E248: 7E0E4107
	v_add_f32_e64 v4, v4, 1.0                                  // 00000000E24C: D1010004 0001E504
	v_add_f32_e64 v5, v5, 1.0                                  // 00000000E254: D1010005 0001E505
	v_add_f32_e64 v6, v6, 1.0                                  // 00000000E25C: D1010006 0001E506
	v_add_f32_e64 v7, v7, 1.0                                  // 00000000E264: D1010007 0001E507
	v_rcp_f32_e32 v4, v4                                       // 00000000E26C: 7E084504
	v_rcp_f32_e32 v5, v5                                       // 00000000E270: 7E0A4505
	v_rcp_f32_e32 v6, v6                                       // 00000000E274: 7E0C4506
	v_rcp_f32_e32 v7, v7                                       // 00000000E278: 7E0E4507
	v_mul_f32_e32 v80, v80, v4                                 // 00000000E27C: 0AA00950
	v_mul_f32_e32 v81, v81, v5                                 // 00000000E280: 0AA20B51
	v_mul_f32_e32 v82, v82, v6                                 // 00000000E284: 0AA40D52
	v_mul_f32_e32 v83, v83, v7                                 // 00000000E288: 0AA60F53
	v_mul_f32_e32 v80, v80, v144                               // 00000000E28C: 0AA12150
	v_mul_f32_e32 v81, v81, v145                               // 00000000E290: 0AA32351
	v_mul_f32_e32 v82, v82, v146                               // 00000000E294: 0AA52552
	v_mul_f32_e32 v83, v83, v147                               // 00000000E298: 0AA72753
	v_mul_f32_e64 v4, -v84, s6                                 // 00000000E29C: D1050004 20000D54
	v_mul_f32_e64 v5, -v85, s6                                 // 00000000E2A4: D1050005 20000D55
	v_mul_f32_e64 v6, -v86, s6                                 // 00000000E2AC: D1050006 20000D56
	v_mul_f32_e64 v7, -v87, s6                                 // 00000000E2B4: D1050007 20000D57
	v_exp_f32_e32 v4, v4                                       // 00000000E2BC: 7E084104
	v_exp_f32_e32 v5, v5                                       // 00000000E2C0: 7E0A4105
	v_exp_f32_e32 v6, v6                                       // 00000000E2C4: 7E0C4106
	v_exp_f32_e32 v7, v7                                       // 00000000E2C8: 7E0E4107
	v_add_f32_e64 v4, v4, 1.0                                  // 00000000E2CC: D1010004 0001E504
	v_add_f32_e64 v5, v5, 1.0                                  // 00000000E2D4: D1010005 0001E505
	v_add_f32_e64 v6, v6, 1.0                                  // 00000000E2DC: D1010006 0001E506
	v_add_f32_e64 v7, v7, 1.0                                  // 00000000E2E4: D1010007 0001E507
	v_rcp_f32_e32 v4, v4                                       // 00000000E2EC: 7E084504
	v_rcp_f32_e32 v5, v5                                       // 00000000E2F0: 7E0A4505
	v_rcp_f32_e32 v6, v6                                       // 00000000E2F4: 7E0C4506
	v_rcp_f32_e32 v7, v7                                       // 00000000E2F8: 7E0E4507
	v_mul_f32_e32 v84, v84, v4                                 // 00000000E2FC: 0AA80954
	v_mul_f32_e32 v85, v85, v5                                 // 00000000E300: 0AAA0B55
	v_mul_f32_e32 v86, v86, v6                                 // 00000000E304: 0AAC0D56
	v_mul_f32_e32 v87, v87, v7                                 // 00000000E308: 0AAE0F57
	v_mul_f32_e32 v84, v84, v148                               // 00000000E30C: 0AA92954
	v_mul_f32_e32 v85, v85, v149                               // 00000000E310: 0AAB2B55
	v_mul_f32_e32 v86, v86, v150                               // 00000000E314: 0AAD2D56
	v_mul_f32_e32 v87, v87, v151                               // 00000000E318: 0AAF2F57
	v_mul_f32_e64 v4, -v88, s6                                 // 00000000E31C: D1050004 20000D58
	v_mul_f32_e64 v5, -v89, s6                                 // 00000000E324: D1050005 20000D59
	v_mul_f32_e64 v6, -v90, s6                                 // 00000000E32C: D1050006 20000D5A
	v_mul_f32_e64 v7, -v91, s6                                 // 00000000E334: D1050007 20000D5B
	v_exp_f32_e32 v4, v4                                       // 00000000E33C: 7E084104
	v_exp_f32_e32 v5, v5                                       // 00000000E340: 7E0A4105
	v_exp_f32_e32 v6, v6                                       // 00000000E344: 7E0C4106
	v_exp_f32_e32 v7, v7                                       // 00000000E348: 7E0E4107
	v_add_f32_e64 v4, v4, 1.0                                  // 00000000E34C: D1010004 0001E504
	v_add_f32_e64 v5, v5, 1.0                                  // 00000000E354: D1010005 0001E505
	v_add_f32_e64 v6, v6, 1.0                                  // 00000000E35C: D1010006 0001E506
	v_add_f32_e64 v7, v7, 1.0                                  // 00000000E364: D1010007 0001E507
	v_rcp_f32_e32 v4, v4                                       // 00000000E36C: 7E084504
	v_rcp_f32_e32 v5, v5                                       // 00000000E370: 7E0A4505
	v_rcp_f32_e32 v6, v6                                       // 00000000E374: 7E0C4506
	v_rcp_f32_e32 v7, v7                                       // 00000000E378: 7E0E4507
	v_mul_f32_e32 v88, v88, v4                                 // 00000000E37C: 0AB00958
	v_mul_f32_e32 v89, v89, v5                                 // 00000000E380: 0AB20B59
	v_mul_f32_e32 v90, v90, v6                                 // 00000000E384: 0AB40D5A
	v_mul_f32_e32 v91, v91, v7                                 // 00000000E388: 0AB60F5B
	v_mul_f32_e32 v88, v88, v152                               // 00000000E38C: 0AB13158
	v_mul_f32_e32 v89, v89, v153                               // 00000000E390: 0AB33359
	v_mul_f32_e32 v90, v90, v154                               // 00000000E394: 0AB5355A
	v_mul_f32_e32 v91, v91, v155                               // 00000000E398: 0AB7375B
	v_mul_f32_e64 v4, -v92, s6                                 // 00000000E39C: D1050004 20000D5C
	v_mul_f32_e64 v5, -v93, s6                                 // 00000000E3A4: D1050005 20000D5D
	v_mul_f32_e64 v6, -v94, s6                                 // 00000000E3AC: D1050006 20000D5E
	v_mul_f32_e64 v7, -v95, s6                                 // 00000000E3B4: D1050007 20000D5F
	v_exp_f32_e32 v4, v4                                       // 00000000E3BC: 7E084104
	v_exp_f32_e32 v5, v5                                       // 00000000E3C0: 7E0A4105
	v_exp_f32_e32 v6, v6                                       // 00000000E3C4: 7E0C4106
	v_exp_f32_e32 v7, v7                                       // 00000000E3C8: 7E0E4107
	v_add_f32_e64 v4, v4, 1.0                                  // 00000000E3CC: D1010004 0001E504
	v_add_f32_e64 v5, v5, 1.0                                  // 00000000E3D4: D1010005 0001E505
	v_add_f32_e64 v6, v6, 1.0                                  // 00000000E3DC: D1010006 0001E506
	v_add_f32_e64 v7, v7, 1.0                                  // 00000000E3E4: D1010007 0001E507
	v_rcp_f32_e32 v4, v4                                       // 00000000E3EC: 7E084504
	v_rcp_f32_e32 v5, v5                                       // 00000000E3F0: 7E0A4505
	v_rcp_f32_e32 v6, v6                                       // 00000000E3F4: 7E0C4506
	v_rcp_f32_e32 v7, v7                                       // 00000000E3F8: 7E0E4507
	v_mul_f32_e32 v92, v92, v4                                 // 00000000E3FC: 0AB8095C
	v_mul_f32_e32 v93, v93, v5                                 // 00000000E400: 0ABA0B5D
	v_mul_f32_e32 v94, v94, v6                                 // 00000000E404: 0ABC0D5E
	v_mul_f32_e32 v95, v95, v7                                 // 00000000E408: 0ABE0F5F
	v_mul_f32_e32 v92, v92, v156                               // 00000000E40C: 0AB9395C
	v_mul_f32_e32 v93, v93, v157                               // 00000000E410: 0ABB3B5D
	v_mul_f32_e32 v94, v94, v158                               // 00000000E414: 0ABD3D5E
	v_mul_f32_e32 v95, v95, v159                               // 00000000E418: 0ABF3F5F
	v_mul_f32_e64 v4, -v96, s6                                 // 00000000E41C: D1050004 20000D60
	v_mul_f32_e64 v5, -v97, s6                                 // 00000000E424: D1050005 20000D61
	v_mul_f32_e64 v6, -v98, s6                                 // 00000000E42C: D1050006 20000D62
	v_mul_f32_e64 v7, -v99, s6                                 // 00000000E434: D1050007 20000D63
	v_exp_f32_e32 v4, v4                                       // 00000000E43C: 7E084104
	v_exp_f32_e32 v5, v5                                       // 00000000E440: 7E0A4105
	v_exp_f32_e32 v6, v6                                       // 00000000E444: 7E0C4106
	v_exp_f32_e32 v7, v7                                       // 00000000E448: 7E0E4107
	v_add_f32_e64 v4, v4, 1.0                                  // 00000000E44C: D1010004 0001E504
	v_add_f32_e64 v5, v5, 1.0                                  // 00000000E454: D1010005 0001E505
	v_add_f32_e64 v6, v6, 1.0                                  // 00000000E45C: D1010006 0001E506
	v_add_f32_e64 v7, v7, 1.0                                  // 00000000E464: D1010007 0001E507
	v_rcp_f32_e32 v4, v4                                       // 00000000E46C: 7E084504
	v_rcp_f32_e32 v5, v5                                       // 00000000E470: 7E0A4505
	v_rcp_f32_e32 v6, v6                                       // 00000000E474: 7E0C4506
	v_rcp_f32_e32 v7, v7                                       // 00000000E478: 7E0E4507
	v_mul_f32_e32 v96, v96, v4                                 // 00000000E47C: 0AC00960
	v_mul_f32_e32 v97, v97, v5                                 // 00000000E480: 0AC20B61
	v_mul_f32_e32 v98, v98, v6                                 // 00000000E484: 0AC40D62
	v_mul_f32_e32 v99, v99, v7                                 // 00000000E488: 0AC60F63
	v_mul_f32_e32 v96, v96, v160                               // 00000000E48C: 0AC14160
	v_mul_f32_e32 v97, v97, v161                               // 00000000E490: 0AC34361
	v_mul_f32_e32 v98, v98, v162                               // 00000000E494: 0AC54562
	v_mul_f32_e32 v99, v99, v163                               // 00000000E498: 0AC74763
	v_mul_f32_e64 v4, -v100, s6                                // 00000000E49C: D1050004 20000D64
	v_mul_f32_e64 v5, -v101, s6                                // 00000000E4A4: D1050005 20000D65
	v_mul_f32_e64 v6, -v102, s6                                // 00000000E4AC: D1050006 20000D66
	v_mul_f32_e64 v7, -v103, s6                                // 00000000E4B4: D1050007 20000D67
	v_exp_f32_e32 v4, v4                                       // 00000000E4BC: 7E084104
	v_exp_f32_e32 v5, v5                                       // 00000000E4C0: 7E0A4105
	v_exp_f32_e32 v6, v6                                       // 00000000E4C4: 7E0C4106
	v_exp_f32_e32 v7, v7                                       // 00000000E4C8: 7E0E4107
	v_add_f32_e64 v4, v4, 1.0                                  // 00000000E4CC: D1010004 0001E504
	v_add_f32_e64 v5, v5, 1.0                                  // 00000000E4D4: D1010005 0001E505
	v_add_f32_e64 v6, v6, 1.0                                  // 00000000E4DC: D1010006 0001E506
	v_add_f32_e64 v7, v7, 1.0                                  // 00000000E4E4: D1010007 0001E507
	v_rcp_f32_e32 v4, v4                                       // 00000000E4EC: 7E084504
	v_rcp_f32_e32 v5, v5                                       // 00000000E4F0: 7E0A4505
	v_rcp_f32_e32 v6, v6                                       // 00000000E4F4: 7E0C4506
	v_rcp_f32_e32 v7, v7                                       // 00000000E4F8: 7E0E4507
	v_mul_f32_e32 v100, v100, v4                               // 00000000E4FC: 0AC80964
	v_mul_f32_e32 v101, v101, v5                               // 00000000E500: 0ACA0B65
	v_mul_f32_e32 v102, v102, v6                               // 00000000E504: 0ACC0D66
	v_mul_f32_e32 v103, v103, v7                               // 00000000E508: 0ACE0F67
	v_mul_f32_e32 v100, v100, v164                             // 00000000E50C: 0AC94964
	v_mul_f32_e32 v101, v101, v165                             // 00000000E510: 0ACB4B65
	v_mul_f32_e32 v102, v102, v166                             // 00000000E514: 0ACD4D66
	v_mul_f32_e32 v103, v103, v167                             // 00000000E518: 0ACF4F67
	v_mul_f32_e64 v4, -v104, s6                                // 00000000E51C: D1050004 20000D68
	v_mul_f32_e64 v5, -v105, s6                                // 00000000E524: D1050005 20000D69
	v_mul_f32_e64 v6, -v106, s6                                // 00000000E52C: D1050006 20000D6A
	v_mul_f32_e64 v7, -v107, s6                                // 00000000E534: D1050007 20000D6B
	v_exp_f32_e32 v4, v4                                       // 00000000E53C: 7E084104
	v_exp_f32_e32 v5, v5                                       // 00000000E540: 7E0A4105
	v_exp_f32_e32 v6, v6                                       // 00000000E544: 7E0C4106
	v_exp_f32_e32 v7, v7                                       // 00000000E548: 7E0E4107
	v_add_f32_e64 v4, v4, 1.0                                  // 00000000E54C: D1010004 0001E504
	v_add_f32_e64 v5, v5, 1.0                                  // 00000000E554: D1010005 0001E505
	v_add_f32_e64 v6, v6, 1.0                                  // 00000000E55C: D1010006 0001E506
	v_add_f32_e64 v7, v7, 1.0                                  // 00000000E564: D1010007 0001E507
	v_rcp_f32_e32 v4, v4                                       // 00000000E56C: 7E084504
	v_rcp_f32_e32 v5, v5                                       // 00000000E570: 7E0A4505
	v_rcp_f32_e32 v6, v6                                       // 00000000E574: 7E0C4506
	v_rcp_f32_e32 v7, v7                                       // 00000000E578: 7E0E4507
	v_mul_f32_e32 v104, v104, v4                               // 00000000E57C: 0AD00968
	v_mul_f32_e32 v105, v105, v5                               // 00000000E580: 0AD20B69
	v_mul_f32_e32 v106, v106, v6                               // 00000000E584: 0AD40D6A
	v_mul_f32_e32 v107, v107, v7                               // 00000000E588: 0AD60F6B
	v_mul_f32_e32 v104, v104, v168                             // 00000000E58C: 0AD15168
	v_mul_f32_e32 v105, v105, v169                             // 00000000E590: 0AD35369
	v_mul_f32_e32 v106, v106, v170                             // 00000000E594: 0AD5556A
	v_mul_f32_e32 v107, v107, v171                             // 00000000E598: 0AD7576B
	v_mul_f32_e64 v4, -v108, s6                                // 00000000E59C: D1050004 20000D6C
	v_mul_f32_e64 v5, -v109, s6                                // 00000000E5A4: D1050005 20000D6D
	v_mul_f32_e64 v6, -v110, s6                                // 00000000E5AC: D1050006 20000D6E
	v_mul_f32_e64 v7, -v111, s6                                // 00000000E5B4: D1050007 20000D6F
	v_exp_f32_e32 v4, v4                                       // 00000000E5BC: 7E084104
	v_exp_f32_e32 v5, v5                                       // 00000000E5C0: 7E0A4105
	v_exp_f32_e32 v6, v6                                       // 00000000E5C4: 7E0C4106
	v_exp_f32_e32 v7, v7                                       // 00000000E5C8: 7E0E4107
	v_add_f32_e64 v4, v4, 1.0                                  // 00000000E5CC: D1010004 0001E504
	v_add_f32_e64 v5, v5, 1.0                                  // 00000000E5D4: D1010005 0001E505
	v_add_f32_e64 v6, v6, 1.0                                  // 00000000E5DC: D1010006 0001E506
	v_add_f32_e64 v7, v7, 1.0                                  // 00000000E5E4: D1010007 0001E507
	v_rcp_f32_e32 v4, v4                                       // 00000000E5EC: 7E084504
	v_rcp_f32_e32 v5, v5                                       // 00000000E5F0: 7E0A4505
	v_rcp_f32_e32 v6, v6                                       // 00000000E5F4: 7E0C4506
	v_rcp_f32_e32 v7, v7                                       // 00000000E5F8: 7E0E4507
	v_mul_f32_e32 v108, v108, v4                               // 00000000E5FC: 0AD8096C
	v_mul_f32_e32 v109, v109, v5                               // 00000000E600: 0ADA0B6D
	v_mul_f32_e32 v110, v110, v6                               // 00000000E604: 0ADC0D6E
	v_mul_f32_e32 v111, v111, v7                               // 00000000E608: 0ADE0F6F
	v_mul_f32_e32 v108, v108, v172                             // 00000000E60C: 0AD9596C
	v_mul_f32_e32 v109, v109, v173                             // 00000000E610: 0ADB5B6D
	v_mul_f32_e32 v110, v110, v174                             // 00000000E614: 0ADD5D6E
	v_mul_f32_e32 v111, v111, v175                             // 00000000E618: 0ADF5F6F
	v_mul_f32_e64 v4, -v112, s6                                // 00000000E61C: D1050004 20000D70
	v_mul_f32_e64 v5, -v113, s6                                // 00000000E624: D1050005 20000D71
	v_mul_f32_e64 v6, -v114, s6                                // 00000000E62C: D1050006 20000D72
	v_mul_f32_e64 v7, -v115, s6                                // 00000000E634: D1050007 20000D73
	v_exp_f32_e32 v4, v4                                       // 00000000E63C: 7E084104
	v_exp_f32_e32 v5, v5                                       // 00000000E640: 7E0A4105
	v_exp_f32_e32 v6, v6                                       // 00000000E644: 7E0C4106
	v_exp_f32_e32 v7, v7                                       // 00000000E648: 7E0E4107
	v_add_f32_e64 v4, v4, 1.0                                  // 00000000E64C: D1010004 0001E504
	v_add_f32_e64 v5, v5, 1.0                                  // 00000000E654: D1010005 0001E505
	v_add_f32_e64 v6, v6, 1.0                                  // 00000000E65C: D1010006 0001E506
	v_add_f32_e64 v7, v7, 1.0                                  // 00000000E664: D1010007 0001E507
	v_rcp_f32_e32 v4, v4                                       // 00000000E66C: 7E084504
	v_rcp_f32_e32 v5, v5                                       // 00000000E670: 7E0A4505
	v_rcp_f32_e32 v6, v6                                       // 00000000E674: 7E0C4506
	v_rcp_f32_e32 v7, v7                                       // 00000000E678: 7E0E4507
	v_mul_f32_e32 v112, v112, v4                               // 00000000E67C: 0AE00970
	v_mul_f32_e32 v113, v113, v5                               // 00000000E680: 0AE20B71
	v_mul_f32_e32 v114, v114, v6                               // 00000000E684: 0AE40D72
	v_mul_f32_e32 v115, v115, v7                               // 00000000E688: 0AE60F73
	v_mul_f32_e32 v112, v112, v176                             // 00000000E68C: 0AE16170
	v_mul_f32_e32 v113, v113, v177                             // 00000000E690: 0AE36371
	v_mul_f32_e32 v114, v114, v178                             // 00000000E694: 0AE56572
	v_mul_f32_e32 v115, v115, v179                             // 00000000E698: 0AE76773
	v_mul_f32_e64 v4, -v116, s6                                // 00000000E69C: D1050004 20000D74
	v_mul_f32_e64 v5, -v117, s6                                // 00000000E6A4: D1050005 20000D75
	v_mul_f32_e64 v6, -v118, s6                                // 00000000E6AC: D1050006 20000D76
	v_mul_f32_e64 v7, -v119, s6                                // 00000000E6B4: D1050007 20000D77
	v_exp_f32_e32 v4, v4                                       // 00000000E6BC: 7E084104
	v_exp_f32_e32 v5, v5                                       // 00000000E6C0: 7E0A4105
	v_exp_f32_e32 v6, v6                                       // 00000000E6C4: 7E0C4106
	v_exp_f32_e32 v7, v7                                       // 00000000E6C8: 7E0E4107
	v_add_f32_e64 v4, v4, 1.0                                  // 00000000E6CC: D1010004 0001E504
	v_add_f32_e64 v5, v5, 1.0                                  // 00000000E6D4: D1010005 0001E505
	v_add_f32_e64 v6, v6, 1.0                                  // 00000000E6DC: D1010006 0001E506
	v_add_f32_e64 v7, v7, 1.0                                  // 00000000E6E4: D1010007 0001E507
	v_rcp_f32_e32 v4, v4                                       // 00000000E6EC: 7E084504
	v_rcp_f32_e32 v5, v5                                       // 00000000E6F0: 7E0A4505
	v_rcp_f32_e32 v6, v6                                       // 00000000E6F4: 7E0C4506
	v_rcp_f32_e32 v7, v7                                       // 00000000E6F8: 7E0E4507
	v_mul_f32_e32 v116, v116, v4                               // 00000000E6FC: 0AE80974
	v_mul_f32_e32 v117, v117, v5                               // 00000000E700: 0AEA0B75
	v_mul_f32_e32 v118, v118, v6                               // 00000000E704: 0AEC0D76
	v_mul_f32_e32 v119, v119, v7                               // 00000000E708: 0AEE0F77
	v_mul_f32_e32 v116, v116, v180                             // 00000000E70C: 0AE96974
	v_mul_f32_e32 v117, v117, v181                             // 00000000E710: 0AEB6B75
	v_mul_f32_e32 v118, v118, v182                             // 00000000E714: 0AED6D76
	v_mul_f32_e32 v119, v119, v183                             // 00000000E718: 0AEF6F77
	v_mul_f32_e64 v4, -v120, s6                                // 00000000E71C: D1050004 20000D78
	v_mul_f32_e64 v5, -v121, s6                                // 00000000E724: D1050005 20000D79
	v_mul_f32_e64 v6, -v122, s6                                // 00000000E72C: D1050006 20000D7A
	v_mul_f32_e64 v7, -v123, s6                                // 00000000E734: D1050007 20000D7B
	v_exp_f32_e32 v4, v4                                       // 00000000E73C: 7E084104
	v_exp_f32_e32 v5, v5                                       // 00000000E740: 7E0A4105
	v_exp_f32_e32 v6, v6                                       // 00000000E744: 7E0C4106
	v_exp_f32_e32 v7, v7                                       // 00000000E748: 7E0E4107
	v_add_f32_e64 v4, v4, 1.0                                  // 00000000E74C: D1010004 0001E504
	v_add_f32_e64 v5, v5, 1.0                                  // 00000000E754: D1010005 0001E505
	v_add_f32_e64 v6, v6, 1.0                                  // 00000000E75C: D1010006 0001E506
	v_add_f32_e64 v7, v7, 1.0                                  // 00000000E764: D1010007 0001E507
	v_rcp_f32_e32 v4, v4                                       // 00000000E76C: 7E084504
	v_rcp_f32_e32 v5, v5                                       // 00000000E770: 7E0A4505
	v_rcp_f32_e32 v6, v6                                       // 00000000E774: 7E0C4506
	v_rcp_f32_e32 v7, v7                                       // 00000000E778: 7E0E4507
	v_mul_f32_e32 v120, v120, v4                               // 00000000E77C: 0AF00978
	v_mul_f32_e32 v121, v121, v5                               // 00000000E780: 0AF20B79
	v_mul_f32_e32 v122, v122, v6                               // 00000000E784: 0AF40D7A
	v_mul_f32_e32 v123, v123, v7                               // 00000000E788: 0AF60F7B
	v_mul_f32_e32 v120, v120, v184                             // 00000000E78C: 0AF17178
	v_mul_f32_e32 v121, v121, v185                             // 00000000E790: 0AF37379
	v_mul_f32_e32 v122, v122, v186                             // 00000000E794: 0AF5757A
	v_mul_f32_e32 v123, v123, v187                             // 00000000E798: 0AF7777B
	v_mul_f32_e64 v4, -v124, s6                                // 00000000E79C: D1050004 20000D7C
	v_mul_f32_e64 v5, -v125, s6                                // 00000000E7A4: D1050005 20000D7D
	v_mul_f32_e64 v6, -v126, s6                                // 00000000E7AC: D1050006 20000D7E
	v_mul_f32_e64 v7, -v127, s6                                // 00000000E7B4: D1050007 20000D7F
	v_exp_f32_e32 v4, v4                                       // 00000000E7BC: 7E084104
	v_exp_f32_e32 v5, v5                                       // 00000000E7C0: 7E0A4105
	v_exp_f32_e32 v6, v6                                       // 00000000E7C4: 7E0C4106
	v_exp_f32_e32 v7, v7                                       // 00000000E7C8: 7E0E4107
	v_add_f32_e64 v4, v4, 1.0                                  // 00000000E7CC: D1010004 0001E504
	v_add_f32_e64 v5, v5, 1.0                                  // 00000000E7D4: D1010005 0001E505
	v_add_f32_e64 v6, v6, 1.0                                  // 00000000E7DC: D1010006 0001E506
	v_add_f32_e64 v7, v7, 1.0                                  // 00000000E7E4: D1010007 0001E507
	v_rcp_f32_e32 v4, v4                                       // 00000000E7EC: 7E084504
	v_rcp_f32_e32 v5, v5                                       // 00000000E7F0: 7E0A4505
	v_rcp_f32_e32 v6, v6                                       // 00000000E7F4: 7E0C4506
	v_rcp_f32_e32 v7, v7                                       // 00000000E7F8: 7E0E4507
	v_mul_f32_e32 v124, v124, v4                               // 00000000E7FC: 0AF8097C
	v_mul_f32_e32 v125, v125, v5                               // 00000000E800: 0AFA0B7D
	v_mul_f32_e32 v126, v126, v6                               // 00000000E804: 0AFC0D7E
	v_mul_f32_e32 v127, v127, v7                               // 00000000E808: 0AFE0F7F
	v_mul_f32_e32 v124, v124, v188                             // 00000000E80C: 0AF9797C
	v_mul_f32_e32 v125, v125, v189                             // 00000000E810: 0AFB7B7D
	v_mul_f32_e32 v126, v126, v190                             // 00000000E814: 0AFD7D7E
	v_mul_f32_e32 v127, v127, v191                             // 00000000E818: 0AFF7F7F
	v_mul_f32_e64 v4, -v128, s6                                // 00000000E81C: D1050004 20000D80
	v_mul_f32_e64 v5, -v129, s6                                // 00000000E824: D1050005 20000D81
	v_mul_f32_e64 v6, -v130, s6                                // 00000000E82C: D1050006 20000D82
	v_mul_f32_e64 v7, -v131, s6                                // 00000000E834: D1050007 20000D83
	v_exp_f32_e32 v4, v4                                       // 00000000E83C: 7E084104
	v_exp_f32_e32 v5, v5                                       // 00000000E840: 7E0A4105
	v_exp_f32_e32 v6, v6                                       // 00000000E844: 7E0C4106
	v_exp_f32_e32 v7, v7                                       // 00000000E848: 7E0E4107
	v_add_f32_e64 v4, v4, 1.0                                  // 00000000E84C: D1010004 0001E504
	v_add_f32_e64 v5, v5, 1.0                                  // 00000000E854: D1010005 0001E505
	v_add_f32_e64 v6, v6, 1.0                                  // 00000000E85C: D1010006 0001E506
	v_add_f32_e64 v7, v7, 1.0                                  // 00000000E864: D1010007 0001E507
	v_rcp_f32_e32 v4, v4                                       // 00000000E86C: 7E084504
	v_rcp_f32_e32 v5, v5                                       // 00000000E870: 7E0A4505
	v_rcp_f32_e32 v6, v6                                       // 00000000E874: 7E0C4506
	v_rcp_f32_e32 v7, v7                                       // 00000000E878: 7E0E4507
	v_mul_f32_e32 v128, v128, v4                               // 00000000E87C: 0B000980
	v_mul_f32_e32 v129, v129, v5                               // 00000000E880: 0B020B81
	v_mul_f32_e32 v130, v130, v6                               // 00000000E884: 0B040D82
	v_mul_f32_e32 v131, v131, v7                               // 00000000E888: 0B060F83
	v_mul_f32_e32 v128, v128, v192                             // 00000000E88C: 0B018180
	v_mul_f32_e32 v129, v129, v193                             // 00000000E890: 0B038381
	v_mul_f32_e32 v130, v130, v194                             // 00000000E894: 0B058582
	v_mul_f32_e32 v131, v131, v195                             // 00000000E898: 0B078783
	v_mul_f32_e64 v4, -v132, s6                                // 00000000E89C: D1050004 20000D84
	v_mul_f32_e64 v5, -v133, s6                                // 00000000E8A4: D1050005 20000D85
	v_mul_f32_e64 v6, -v134, s6                                // 00000000E8AC: D1050006 20000D86
	v_mul_f32_e64 v7, -v135, s6                                // 00000000E8B4: D1050007 20000D87
	v_exp_f32_e32 v4, v4                                       // 00000000E8BC: 7E084104
	v_exp_f32_e32 v5, v5                                       // 00000000E8C0: 7E0A4105
	v_exp_f32_e32 v6, v6                                       // 00000000E8C4: 7E0C4106
	v_exp_f32_e32 v7, v7                                       // 00000000E8C8: 7E0E4107
	v_add_f32_e64 v4, v4, 1.0                                  // 00000000E8CC: D1010004 0001E504
	v_add_f32_e64 v5, v5, 1.0                                  // 00000000E8D4: D1010005 0001E505
	v_add_f32_e64 v6, v6, 1.0                                  // 00000000E8DC: D1010006 0001E506
	v_add_f32_e64 v7, v7, 1.0                                  // 00000000E8E4: D1010007 0001E507
	v_rcp_f32_e32 v4, v4                                       // 00000000E8EC: 7E084504
	v_rcp_f32_e32 v5, v5                                       // 00000000E8F0: 7E0A4505
	v_rcp_f32_e32 v6, v6                                       // 00000000E8F4: 7E0C4506
	v_rcp_f32_e32 v7, v7                                       // 00000000E8F8: 7E0E4507
	v_mul_f32_e32 v132, v132, v4                               // 00000000E8FC: 0B080984
	v_mul_f32_e32 v133, v133, v5                               // 00000000E900: 0B0A0B85
	v_mul_f32_e32 v134, v134, v6                               // 00000000E904: 0B0C0D86
	v_mul_f32_e32 v135, v135, v7                               // 00000000E908: 0B0E0F87
	v_mul_f32_e32 v132, v132, v196                             // 00000000E90C: 0B098984
	v_mul_f32_e32 v133, v133, v197                             // 00000000E910: 0B0B8B85
	v_mul_f32_e32 v134, v134, v198                             // 00000000E914: 0B0D8D86
	v_mul_f32_e32 v135, v135, v199                             // 00000000E918: 0B0F8F87
	v_mul_f32_e64 v4, -v136, s6                                // 00000000E91C: D1050004 20000D88
	v_mul_f32_e64 v5, -v137, s6                                // 00000000E924: D1050005 20000D89
	v_mul_f32_e64 v6, -v138, s6                                // 00000000E92C: D1050006 20000D8A
	v_mul_f32_e64 v7, -v139, s6                                // 00000000E934: D1050007 20000D8B
	v_exp_f32_e32 v4, v4                                       // 00000000E93C: 7E084104
	v_exp_f32_e32 v5, v5                                       // 00000000E940: 7E0A4105
	v_exp_f32_e32 v6, v6                                       // 00000000E944: 7E0C4106
	v_exp_f32_e32 v7, v7                                       // 00000000E948: 7E0E4107
	v_add_f32_e64 v4, v4, 1.0                                  // 00000000E94C: D1010004 0001E504
	v_add_f32_e64 v5, v5, 1.0                                  // 00000000E954: D1010005 0001E505
	v_add_f32_e64 v6, v6, 1.0                                  // 00000000E95C: D1010006 0001E506
	v_add_f32_e64 v7, v7, 1.0                                  // 00000000E964: D1010007 0001E507
	v_rcp_f32_e32 v4, v4                                       // 00000000E96C: 7E084504
	v_rcp_f32_e32 v5, v5                                       // 00000000E970: 7E0A4505
	v_rcp_f32_e32 v6, v6                                       // 00000000E974: 7E0C4506
	v_rcp_f32_e32 v7, v7                                       // 00000000E978: 7E0E4507
	v_mul_f32_e32 v136, v136, v4                               // 00000000E97C: 0B100988
	v_mul_f32_e32 v137, v137, v5                               // 00000000E980: 0B120B89
	v_mul_f32_e32 v138, v138, v6                               // 00000000E984: 0B140D8A
	v_mul_f32_e32 v139, v139, v7                               // 00000000E988: 0B160F8B
	v_mul_f32_e32 v136, v136, v200                             // 00000000E98C: 0B119188
	v_mul_f32_e32 v137, v137, v201                             // 00000000E990: 0B139389
	v_mul_f32_e32 v138, v138, v202                             // 00000000E994: 0B15958A
	v_mul_f32_e32 v139, v139, v203                             // 00000000E998: 0B17978B
	v_mul_f32_e64 v4, -v140, s6                                // 00000000E99C: D1050004 20000D8C
	v_mul_f32_e64 v5, -v141, s6                                // 00000000E9A4: D1050005 20000D8D
	v_mul_f32_e64 v6, -v142, s6                                // 00000000E9AC: D1050006 20000D8E
	v_mul_f32_e64 v7, -v143, s6                                // 00000000E9B4: D1050007 20000D8F
	v_exp_f32_e32 v4, v4                                       // 00000000E9BC: 7E084104
	v_exp_f32_e32 v5, v5                                       // 00000000E9C0: 7E0A4105
	v_exp_f32_e32 v6, v6                                       // 00000000E9C4: 7E0C4106
	v_exp_f32_e32 v7, v7                                       // 00000000E9C8: 7E0E4107
	v_add_f32_e64 v4, v4, 1.0                                  // 00000000E9CC: D1010004 0001E504
	v_add_f32_e64 v5, v5, 1.0                                  // 00000000E9D4: D1010005 0001E505
	v_add_f32_e64 v6, v6, 1.0                                  // 00000000E9DC: D1010006 0001E506
	v_add_f32_e64 v7, v7, 1.0                                  // 00000000E9E4: D1010007 0001E507
	v_rcp_f32_e32 v4, v4                                       // 00000000E9EC: 7E084504
	v_rcp_f32_e32 v5, v5                                       // 00000000E9F0: 7E0A4505
	v_rcp_f32_e32 v6, v6                                       // 00000000E9F4: 7E0C4506
	v_rcp_f32_e32 v7, v7                                       // 00000000E9F8: 7E0E4507
	v_mul_f32_e32 v140, v140, v4                               // 00000000E9FC: 0B18098C
	v_mul_f32_e32 v141, v141, v5                               // 00000000EA00: 0B1A0B8D
	v_mul_f32_e32 v142, v142, v6                               // 00000000EA04: 0B1C0D8E
	v_mul_f32_e32 v143, v143, v7                               // 00000000EA08: 0B1E0F8F
	v_mul_f32_e32 v140, v140, v204                             // 00000000EA0C: 0B19998C
	v_mul_f32_e32 v141, v141, v205                             // 00000000EA10: 0B1B9B8D
	v_mul_f32_e32 v142, v142, v206                             // 00000000EA14: 0B1D9D8E
	v_mul_f32_e32 v143, v143, v207                             // 00000000EA18: 0B1F9F8F

000000000000ea1c <label_300A>:
	v_cmp_u_f32_e64 s[46:47], v80, v80                         // 00000000EA1C: D048002E 0002A150
	v_add3_u32 v16, v80, v19, 1                                // 00000000EA24: D1FF0010 02062750
	v_cndmask_b32_e64 v4, v16, v18, s[46:47]                   // 00000000EA2C: D1000004 00BA2510
	v_cmp_u_f32_e64 s[46:47], v81, v81                         // 00000000EA34: D048002E 0002A351
	v_add3_u32 v16, v81, v19, 1                                // 00000000EA3C: D1FF0010 02062751
	v_cndmask_b32_e64 v5, v16, v18, s[46:47]                   // 00000000EA44: D1000005 00BA2510
	v_perm_b32 v80, v5, v4, s52                                // 00000000EA4C: D1ED0050 00D20905
	v_cmp_u_f32_e64 s[46:47], v82, v82                         // 00000000EA54: D048002E 0002A552
	v_add3_u32 v16, v82, v19, 1                                // 00000000EA5C: D1FF0010 02062752
	v_cndmask_b32_e64 v4, v16, v18, s[46:47]                   // 00000000EA64: D1000004 00BA2510
	v_cmp_u_f32_e64 s[46:47], v83, v83                         // 00000000EA6C: D048002E 0002A753
	v_add3_u32 v16, v83, v19, 1                                // 00000000EA74: D1FF0010 02062753
	v_cndmask_b32_e64 v5, v16, v18, s[46:47]                   // 00000000EA7C: D1000005 00BA2510
	v_perm_b32 v81, v5, v4, s52                                // 00000000EA84: D1ED0051 00D20905
	v_cmp_u_f32_e64 s[46:47], v84, v84                         // 00000000EA8C: D048002E 0002A954
	v_add3_u32 v16, v84, v19, 1                                // 00000000EA94: D1FF0010 02062754
	v_cndmask_b32_e64 v4, v16, v18, s[46:47]                   // 00000000EA9C: D1000004 00BA2510
	v_cmp_u_f32_e64 s[46:47], v85, v85                         // 00000000EAA4: D048002E 0002AB55
	v_add3_u32 v16, v85, v19, 1                                // 00000000EAAC: D1FF0010 02062755
	v_cndmask_b32_e64 v5, v16, v18, s[46:47]                   // 00000000EAB4: D1000005 00BA2510
	v_perm_b32 v82, v5, v4, s52                                // 00000000EABC: D1ED0052 00D20905
	v_cmp_u_f32_e64 s[46:47], v86, v86                         // 00000000EAC4: D048002E 0002AD56
	v_add3_u32 v16, v86, v19, 1                                // 00000000EACC: D1FF0010 02062756
	v_cndmask_b32_e64 v4, v16, v18, s[46:47]                   // 00000000EAD4: D1000004 00BA2510
	v_cmp_u_f32_e64 s[46:47], v87, v87                         // 00000000EADC: D048002E 0002AF57
	v_add3_u32 v16, v87, v19, 1                                // 00000000EAE4: D1FF0010 02062757
	v_cndmask_b32_e64 v5, v16, v18, s[46:47]                   // 00000000EAEC: D1000005 00BA2510
	v_perm_b32 v83, v5, v4, s52                                // 00000000EAF4: D1ED0053 00D20905
	v_cmp_u_f32_e64 s[46:47], v88, v88                         // 00000000EAFC: D048002E 0002B158
	v_add3_u32 v16, v88, v19, 1                                // 00000000EB04: D1FF0010 02062758
	v_cndmask_b32_e64 v4, v16, v18, s[46:47]                   // 00000000EB0C: D1000004 00BA2510
	v_cmp_u_f32_e64 s[46:47], v89, v89                         // 00000000EB14: D048002E 0002B359
	v_add3_u32 v16, v89, v19, 1                                // 00000000EB1C: D1FF0010 02062759
	v_cndmask_b32_e64 v5, v16, v18, s[46:47]                   // 00000000EB24: D1000005 00BA2510
	v_perm_b32 v84, v5, v4, s52                                // 00000000EB2C: D1ED0054 00D20905
	v_cmp_u_f32_e64 s[46:47], v90, v90                         // 00000000EB34: D048002E 0002B55A
	v_add3_u32 v16, v90, v19, 1                                // 00000000EB3C: D1FF0010 0206275A
	v_cndmask_b32_e64 v4, v16, v18, s[46:47]                   // 00000000EB44: D1000004 00BA2510
	v_cmp_u_f32_e64 s[46:47], v91, v91                         // 00000000EB4C: D048002E 0002B75B
	v_add3_u32 v16, v91, v19, 1                                // 00000000EB54: D1FF0010 0206275B
	v_cndmask_b32_e64 v5, v16, v18, s[46:47]                   // 00000000EB5C: D1000005 00BA2510
	v_perm_b32 v85, v5, v4, s52                                // 00000000EB64: D1ED0055 00D20905
	v_cmp_u_f32_e64 s[46:47], v92, v92                         // 00000000EB6C: D048002E 0002B95C
	v_add3_u32 v16, v92, v19, 1                                // 00000000EB74: D1FF0010 0206275C
	v_cndmask_b32_e64 v4, v16, v18, s[46:47]                   // 00000000EB7C: D1000004 00BA2510
	v_cmp_u_f32_e64 s[46:47], v93, v93                         // 00000000EB84: D048002E 0002BB5D
	v_add3_u32 v16, v93, v19, 1                                // 00000000EB8C: D1FF0010 0206275D
	v_cndmask_b32_e64 v5, v16, v18, s[46:47]                   // 00000000EB94: D1000005 00BA2510
	v_perm_b32 v86, v5, v4, s52                                // 00000000EB9C: D1ED0056 00D20905
	v_cmp_u_f32_e64 s[46:47], v94, v94                         // 00000000EBA4: D048002E 0002BD5E
	v_add3_u32 v16, v94, v19, 1                                // 00000000EBAC: D1FF0010 0206275E
	v_cndmask_b32_e64 v4, v16, v18, s[46:47]                   // 00000000EBB4: D1000004 00BA2510
	v_cmp_u_f32_e64 s[46:47], v95, v95                         // 00000000EBBC: D048002E 0002BF5F
	v_add3_u32 v16, v95, v19, 1                                // 00000000EBC4: D1FF0010 0206275F
	v_cndmask_b32_e64 v5, v16, v18, s[46:47]                   // 00000000EBCC: D1000005 00BA2510
	v_perm_b32 v87, v5, v4, s52                                // 00000000EBD4: D1ED0057 00D20905
	v_cmp_u_f32_e64 s[46:47], v96, v96                         // 00000000EBDC: D048002E 0002C160
	v_add3_u32 v16, v96, v19, 1                                // 00000000EBE4: D1FF0010 02062760
	v_cndmask_b32_e64 v4, v16, v18, s[46:47]                   // 00000000EBEC: D1000004 00BA2510
	v_cmp_u_f32_e64 s[46:47], v97, v97                         // 00000000EBF4: D048002E 0002C361
	v_add3_u32 v16, v97, v19, 1                                // 00000000EBFC: D1FF0010 02062761
	v_cndmask_b32_e64 v5, v16, v18, s[46:47]                   // 00000000EC04: D1000005 00BA2510
	v_perm_b32 v88, v5, v4, s52                                // 00000000EC0C: D1ED0058 00D20905
	v_cmp_u_f32_e64 s[46:47], v98, v98                         // 00000000EC14: D048002E 0002C562
	v_add3_u32 v16, v98, v19, 1                                // 00000000EC1C: D1FF0010 02062762
	v_cndmask_b32_e64 v4, v16, v18, s[46:47]                   // 00000000EC24: D1000004 00BA2510
	v_cmp_u_f32_e64 s[46:47], v99, v99                         // 00000000EC2C: D048002E 0002C763
	v_add3_u32 v16, v99, v19, 1                                // 00000000EC34: D1FF0010 02062763
	v_cndmask_b32_e64 v5, v16, v18, s[46:47]                   // 00000000EC3C: D1000005 00BA2510
	v_perm_b32 v89, v5, v4, s52                                // 00000000EC44: D1ED0059 00D20905
	v_cmp_u_f32_e64 s[46:47], v100, v100                       // 00000000EC4C: D048002E 0002C964
	v_add3_u32 v16, v100, v19, 1                               // 00000000EC54: D1FF0010 02062764
	v_cndmask_b32_e64 v4, v16, v18, s[46:47]                   // 00000000EC5C: D1000004 00BA2510
	v_cmp_u_f32_e64 s[46:47], v101, v101                       // 00000000EC64: D048002E 0002CB65
	v_add3_u32 v16, v101, v19, 1                               // 00000000EC6C: D1FF0010 02062765
	v_cndmask_b32_e64 v5, v16, v18, s[46:47]                   // 00000000EC74: D1000005 00BA2510
	v_perm_b32 v90, v5, v4, s52                                // 00000000EC7C: D1ED005A 00D20905
	v_cmp_u_f32_e64 s[46:47], v102, v102                       // 00000000EC84: D048002E 0002CD66
	v_add3_u32 v16, v102, v19, 1                               // 00000000EC8C: D1FF0010 02062766
	v_cndmask_b32_e64 v4, v16, v18, s[46:47]                   // 00000000EC94: D1000004 00BA2510
	v_cmp_u_f32_e64 s[46:47], v103, v103                       // 00000000EC9C: D048002E 0002CF67
	v_add3_u32 v16, v103, v19, 1                               // 00000000ECA4: D1FF0010 02062767
	v_cndmask_b32_e64 v5, v16, v18, s[46:47]                   // 00000000ECAC: D1000005 00BA2510
	v_perm_b32 v91, v5, v4, s52                                // 00000000ECB4: D1ED005B 00D20905
	v_cmp_u_f32_e64 s[46:47], v104, v104                       // 00000000ECBC: D048002E 0002D168
	v_add3_u32 v16, v104, v19, 1                               // 00000000ECC4: D1FF0010 02062768
	v_cndmask_b32_e64 v4, v16, v18, s[46:47]                   // 00000000ECCC: D1000004 00BA2510
	v_cmp_u_f32_e64 s[46:47], v105, v105                       // 00000000ECD4: D048002E 0002D369
	v_add3_u32 v16, v105, v19, 1                               // 00000000ECDC: D1FF0010 02062769
	v_cndmask_b32_e64 v5, v16, v18, s[46:47]                   // 00000000ECE4: D1000005 00BA2510
	v_perm_b32 v92, v5, v4, s52                                // 00000000ECEC: D1ED005C 00D20905
	v_cmp_u_f32_e64 s[46:47], v106, v106                       // 00000000ECF4: D048002E 0002D56A
	v_add3_u32 v16, v106, v19, 1                               // 00000000ECFC: D1FF0010 0206276A
	v_cndmask_b32_e64 v4, v16, v18, s[46:47]                   // 00000000ED04: D1000004 00BA2510
	v_cmp_u_f32_e64 s[46:47], v107, v107                       // 00000000ED0C: D048002E 0002D76B
	v_add3_u32 v16, v107, v19, 1                               // 00000000ED14: D1FF0010 0206276B
	v_cndmask_b32_e64 v5, v16, v18, s[46:47]                   // 00000000ED1C: D1000005 00BA2510
	v_perm_b32 v93, v5, v4, s52                                // 00000000ED24: D1ED005D 00D20905
	v_cmp_u_f32_e64 s[46:47], v108, v108                       // 00000000ED2C: D048002E 0002D96C
	v_add3_u32 v16, v108, v19, 1                               // 00000000ED34: D1FF0010 0206276C
	v_cndmask_b32_e64 v4, v16, v18, s[46:47]                   // 00000000ED3C: D1000004 00BA2510
	v_cmp_u_f32_e64 s[46:47], v109, v109                       // 00000000ED44: D048002E 0002DB6D
	v_add3_u32 v16, v109, v19, 1                               // 00000000ED4C: D1FF0010 0206276D
	v_cndmask_b32_e64 v5, v16, v18, s[46:47]                   // 00000000ED54: D1000005 00BA2510
	v_perm_b32 v94, v5, v4, s52                                // 00000000ED5C: D1ED005E 00D20905
	v_cmp_u_f32_e64 s[46:47], v110, v110                       // 00000000ED64: D048002E 0002DD6E
	v_add3_u32 v16, v110, v19, 1                               // 00000000ED6C: D1FF0010 0206276E
	v_cndmask_b32_e64 v4, v16, v18, s[46:47]                   // 00000000ED74: D1000004 00BA2510
	v_cmp_u_f32_e64 s[46:47], v111, v111                       // 00000000ED7C: D048002E 0002DF6F
	v_add3_u32 v16, v111, v19, 1                               // 00000000ED84: D1FF0010 0206276F
	v_cndmask_b32_e64 v5, v16, v18, s[46:47]                   // 00000000ED8C: D1000005 00BA2510
	v_perm_b32 v95, v5, v4, s52                                // 00000000ED94: D1ED005F 00D20905
	v_cmp_u_f32_e64 s[46:47], v112, v112                       // 00000000ED9C: D048002E 0002E170
	v_add3_u32 v16, v112, v19, 1                               // 00000000EDA4: D1FF0010 02062770
	v_cndmask_b32_e64 v4, v16, v18, s[46:47]                   // 00000000EDAC: D1000004 00BA2510
	v_cmp_u_f32_e64 s[46:47], v113, v113                       // 00000000EDB4: D048002E 0002E371
	v_add3_u32 v16, v113, v19, 1                               // 00000000EDBC: D1FF0010 02062771
	v_cndmask_b32_e64 v5, v16, v18, s[46:47]                   // 00000000EDC4: D1000005 00BA2510
	v_perm_b32 v96, v5, v4, s52                                // 00000000EDCC: D1ED0060 00D20905
	v_cmp_u_f32_e64 s[46:47], v114, v114                       // 00000000EDD4: D048002E 0002E572
	v_add3_u32 v16, v114, v19, 1                               // 00000000EDDC: D1FF0010 02062772
	v_cndmask_b32_e64 v4, v16, v18, s[46:47]                   // 00000000EDE4: D1000004 00BA2510
	v_cmp_u_f32_e64 s[46:47], v115, v115                       // 00000000EDEC: D048002E 0002E773
	v_add3_u32 v16, v115, v19, 1                               // 00000000EDF4: D1FF0010 02062773
	v_cndmask_b32_e64 v5, v16, v18, s[46:47]                   // 00000000EDFC: D1000005 00BA2510
	v_perm_b32 v97, v5, v4, s52                                // 00000000EE04: D1ED0061 00D20905
	v_cmp_u_f32_e64 s[46:47], v116, v116                       // 00000000EE0C: D048002E 0002E974
	v_add3_u32 v16, v116, v19, 1                               // 00000000EE14: D1FF0010 02062774
	v_cndmask_b32_e64 v4, v16, v18, s[46:47]                   // 00000000EE1C: D1000004 00BA2510
	v_cmp_u_f32_e64 s[46:47], v117, v117                       // 00000000EE24: D048002E 0002EB75
	v_add3_u32 v16, v117, v19, 1                               // 00000000EE2C: D1FF0010 02062775
	v_cndmask_b32_e64 v5, v16, v18, s[46:47]                   // 00000000EE34: D1000005 00BA2510
	v_perm_b32 v98, v5, v4, s52                                // 00000000EE3C: D1ED0062 00D20905
	v_cmp_u_f32_e64 s[46:47], v118, v118                       // 00000000EE44: D048002E 0002ED76
	v_add3_u32 v16, v118, v19, 1                               // 00000000EE4C: D1FF0010 02062776
	v_cndmask_b32_e64 v4, v16, v18, s[46:47]                   // 00000000EE54: D1000004 00BA2510
	v_cmp_u_f32_e64 s[46:47], v119, v119                       // 00000000EE5C: D048002E 0002EF77
	v_add3_u32 v16, v119, v19, 1                               // 00000000EE64: D1FF0010 02062777
	v_cndmask_b32_e64 v5, v16, v18, s[46:47]                   // 00000000EE6C: D1000005 00BA2510
	v_perm_b32 v99, v5, v4, s52                                // 00000000EE74: D1ED0063 00D20905
	v_cmp_u_f32_e64 s[46:47], v120, v120                       // 00000000EE7C: D048002E 0002F178
	v_add3_u32 v16, v120, v19, 1                               // 00000000EE84: D1FF0010 02062778
	v_cndmask_b32_e64 v4, v16, v18, s[46:47]                   // 00000000EE8C: D1000004 00BA2510
	v_cmp_u_f32_e64 s[46:47], v121, v121                       // 00000000EE94: D048002E 0002F379
	v_add3_u32 v16, v121, v19, 1                               // 00000000EE9C: D1FF0010 02062779
	v_cndmask_b32_e64 v5, v16, v18, s[46:47]                   // 00000000EEA4: D1000005 00BA2510
	v_perm_b32 v100, v5, v4, s52                               // 00000000EEAC: D1ED0064 00D20905
	v_cmp_u_f32_e64 s[46:47], v122, v122                       // 00000000EEB4: D048002E 0002F57A
	v_add3_u32 v16, v122, v19, 1                               // 00000000EEBC: D1FF0010 0206277A
	v_cndmask_b32_e64 v4, v16, v18, s[46:47]                   // 00000000EEC4: D1000004 00BA2510
	v_cmp_u_f32_e64 s[46:47], v123, v123                       // 00000000EECC: D048002E 0002F77B
	v_add3_u32 v16, v123, v19, 1                               // 00000000EED4: D1FF0010 0206277B
	v_cndmask_b32_e64 v5, v16, v18, s[46:47]                   // 00000000EEDC: D1000005 00BA2510
	v_perm_b32 v101, v5, v4, s52                               // 00000000EEE4: D1ED0065 00D20905
	v_cmp_u_f32_e64 s[46:47], v124, v124                       // 00000000EEEC: D048002E 0002F97C
	v_add3_u32 v16, v124, v19, 1                               // 00000000EEF4: D1FF0010 0206277C
	v_cndmask_b32_e64 v4, v16, v18, s[46:47]                   // 00000000EEFC: D1000004 00BA2510
	v_cmp_u_f32_e64 s[46:47], v125, v125                       // 00000000EF04: D048002E 0002FB7D
	v_add3_u32 v16, v125, v19, 1                               // 00000000EF0C: D1FF0010 0206277D
	v_cndmask_b32_e64 v5, v16, v18, s[46:47]                   // 00000000EF14: D1000005 00BA2510
	v_perm_b32 v102, v5, v4, s52                               // 00000000EF1C: D1ED0066 00D20905
	v_cmp_u_f32_e64 s[46:47], v126, v126                       // 00000000EF24: D048002E 0002FD7E
	v_add3_u32 v16, v126, v19, 1                               // 00000000EF2C: D1FF0010 0206277E
	v_cndmask_b32_e64 v4, v16, v18, s[46:47]                   // 00000000EF34: D1000004 00BA2510
	v_cmp_u_f32_e64 s[46:47], v127, v127                       // 00000000EF3C: D048002E 0002FF7F
	v_add3_u32 v16, v127, v19, 1                               // 00000000EF44: D1FF0010 0206277F
	v_cndmask_b32_e64 v5, v16, v18, s[46:47]                   // 00000000EF4C: D1000005 00BA2510
	v_perm_b32 v103, v5, v4, s52                               // 00000000EF54: D1ED0067 00D20905
	v_cmp_u_f32_e64 s[46:47], v128, v128                       // 00000000EF5C: D048002E 00030180
	v_add3_u32 v16, v128, v19, 1                               // 00000000EF64: D1FF0010 02062780
	v_cndmask_b32_e64 v4, v16, v18, s[46:47]                   // 00000000EF6C: D1000004 00BA2510
	v_cmp_u_f32_e64 s[46:47], v129, v129                       // 00000000EF74: D048002E 00030381
	v_add3_u32 v16, v129, v19, 1                               // 00000000EF7C: D1FF0010 02062781
	v_cndmask_b32_e64 v5, v16, v18, s[46:47]                   // 00000000EF84: D1000005 00BA2510
	v_perm_b32 v104, v5, v4, s52                               // 00000000EF8C: D1ED0068 00D20905
	v_cmp_u_f32_e64 s[46:47], v130, v130                       // 00000000EF94: D048002E 00030582
	v_add3_u32 v16, v130, v19, 1                               // 00000000EF9C: D1FF0010 02062782
	v_cndmask_b32_e64 v4, v16, v18, s[46:47]                   // 00000000EFA4: D1000004 00BA2510
	v_cmp_u_f32_e64 s[46:47], v131, v131                       // 00000000EFAC: D048002E 00030783
	v_add3_u32 v16, v131, v19, 1                               // 00000000EFB4: D1FF0010 02062783
	v_cndmask_b32_e64 v5, v16, v18, s[46:47]                   // 00000000EFBC: D1000005 00BA2510
	v_perm_b32 v105, v5, v4, s52                               // 00000000EFC4: D1ED0069 00D20905
	v_cmp_u_f32_e64 s[46:47], v132, v132                       // 00000000EFCC: D048002E 00030984
	v_add3_u32 v16, v132, v19, 1                               // 00000000EFD4: D1FF0010 02062784
	v_cndmask_b32_e64 v4, v16, v18, s[46:47]                   // 00000000EFDC: D1000004 00BA2510
	v_cmp_u_f32_e64 s[46:47], v133, v133                       // 00000000EFE4: D048002E 00030B85
	v_add3_u32 v16, v133, v19, 1                               // 00000000EFEC: D1FF0010 02062785
	v_cndmask_b32_e64 v5, v16, v18, s[46:47]                   // 00000000EFF4: D1000005 00BA2510
	v_perm_b32 v106, v5, v4, s52                               // 00000000EFFC: D1ED006A 00D20905
	v_cmp_u_f32_e64 s[46:47], v134, v134                       // 00000000F004: D048002E 00030D86
	v_add3_u32 v16, v134, v19, 1                               // 00000000F00C: D1FF0010 02062786
	v_cndmask_b32_e64 v4, v16, v18, s[46:47]                   // 00000000F014: D1000004 00BA2510
	v_cmp_u_f32_e64 s[46:47], v135, v135                       // 00000000F01C: D048002E 00030F87
	v_add3_u32 v16, v135, v19, 1                               // 00000000F024: D1FF0010 02062787
	v_cndmask_b32_e64 v5, v16, v18, s[46:47]                   // 00000000F02C: D1000005 00BA2510
	v_perm_b32 v107, v5, v4, s52                               // 00000000F034: D1ED006B 00D20905
	v_cmp_u_f32_e64 s[46:47], v136, v136                       // 00000000F03C: D048002E 00031188
	v_add3_u32 v16, v136, v19, 1                               // 00000000F044: D1FF0010 02062788
	v_cndmask_b32_e64 v4, v16, v18, s[46:47]                   // 00000000F04C: D1000004 00BA2510
	v_cmp_u_f32_e64 s[46:47], v137, v137                       // 00000000F054: D048002E 00031389
	v_add3_u32 v16, v137, v19, 1                               // 00000000F05C: D1FF0010 02062789
	v_cndmask_b32_e64 v5, v16, v18, s[46:47]                   // 00000000F064: D1000005 00BA2510
	v_perm_b32 v108, v5, v4, s52                               // 00000000F06C: D1ED006C 00D20905
	v_cmp_u_f32_e64 s[46:47], v138, v138                       // 00000000F074: D048002E 0003158A
	v_add3_u32 v16, v138, v19, 1                               // 00000000F07C: D1FF0010 0206278A
	v_cndmask_b32_e64 v4, v16, v18, s[46:47]                   // 00000000F084: D1000004 00BA2510
	v_cmp_u_f32_e64 s[46:47], v139, v139                       // 00000000F08C: D048002E 0003178B
	v_add3_u32 v16, v139, v19, 1                               // 00000000F094: D1FF0010 0206278B
	v_cndmask_b32_e64 v5, v16, v18, s[46:47]                   // 00000000F09C: D1000005 00BA2510
	v_perm_b32 v109, v5, v4, s52                               // 00000000F0A4: D1ED006D 00D20905
	v_cmp_u_f32_e64 s[46:47], v140, v140                       // 00000000F0AC: D048002E 0003198C
	v_add3_u32 v16, v140, v19, 1                               // 00000000F0B4: D1FF0010 0206278C
	v_cndmask_b32_e64 v4, v16, v18, s[46:47]                   // 00000000F0BC: D1000004 00BA2510
	v_cmp_u_f32_e64 s[46:47], v141, v141                       // 00000000F0C4: D048002E 00031B8D
	v_add3_u32 v16, v141, v19, 1                               // 00000000F0CC: D1FF0010 0206278D
	v_cndmask_b32_e64 v5, v16, v18, s[46:47]                   // 00000000F0D4: D1000005 00BA2510
	v_perm_b32 v110, v5, v4, s52                               // 00000000F0DC: D1ED006E 00D20905
	v_cmp_u_f32_e64 s[46:47], v142, v142                       // 00000000F0E4: D048002E 00031D8E
	v_add3_u32 v16, v142, v19, 1                               // 00000000F0EC: D1FF0010 0206278E
	v_cndmask_b32_e64 v4, v16, v18, s[46:47]                   // 00000000F0F4: D1000004 00BA2510
	v_cmp_u_f32_e64 s[46:47], v143, v143                       // 00000000F0FC: D048002E 00031F8F
	v_add3_u32 v16, v143, v19, 1                               // 00000000F104: D1FF0010 0206278F
	v_cndmask_b32_e64 v5, v16, v18, s[46:47]                   // 00000000F10C: D1000005 00BA2510
	v_perm_b32 v111, v5, v4, s52                               // 00000000F114: D1ED006F 00D20905
	ds_write_b64 v20, v[80:81]                                 // 00000000F11C: D89A0000 00005014
	ds_write_b64 v20, v[82:83] offset:4352                     // 00000000F124: D89A1100 00005214
	ds_write_b64 v20, v[84:85] offset:8704                     // 00000000F12C: D89A2200 00005414
	ds_write_b64 v20, v[86:87] offset:13056                    // 00000000F134: D89A3300 00005614
	ds_write_b64 v20, v[88:89] offset:17408                    // 00000000F13C: D89A4400 00005814
	ds_write_b64 v20, v[90:91] offset:21760                    // 00000000F144: D89A5500 00005A14
	ds_write_b64 v20, v[92:93] offset:26112                    // 00000000F14C: D89A6600 00005C14
	ds_write_b64 v20, v[94:95] offset:30464                    // 00000000F154: D89A7700 00005E14
	ds_write_b64 v20, v[96:97] offset:2176                     // 00000000F15C: D89A0880 00006014
	ds_write_b64 v20, v[98:99] offset:6528                     // 00000000F164: D89A1980 00006214
	ds_write_b64 v20, v[100:101] offset:10880                  // 00000000F16C: D89A2A80 00006414
	ds_write_b64 v20, v[102:103] offset:15232                  // 00000000F174: D89A3B80 00006614
	ds_write_b64 v20, v[104:105] offset:19584                  // 00000000F17C: D89A4C80 00006814
	ds_write_b64 v20, v[106:107] offset:23936                  // 00000000F184: D89A5D80 00006A14
	ds_write_b64 v20, v[108:109] offset:28288                  // 00000000F18C: D89A6E80 00006C14
	ds_write_b64 v20, v[110:111] offset:32640                  // 00000000F194: D89A7F80 00006E14
	v_lshrrev_b32_e32 v4, 5, v0                                // 00000000F19C: 20080085
	v_xor_b32_e32 v5, 1, v4                                    // 00000000F1A0: 2A0A0881
	s_mul_i32 s60, s65, 2                                      // 00000000F1A4: 923C8241
	s_cmp_eq_u32 s88, 0                                        // 00000000F1A8: BF068058
	s_cselect_b32 s61, 1, 4                                    // 00000000F1AC: 853D8481
	s_mul_i32 s60, s61, s60                                    // 00000000F1B0: 923C3C3D
	v_readlane_b32 s82, v3, 0                                  // 00000000F1B4: D2890052 00010103
	s_lshr_b32 s61, s82, 24                                    // 00000000F1BC: 8F3D9852
	s_and_b32 s82, s82, 0xffffff                               // 00000000F1C0: 8652FF52 00FFFFFF
	s_mul_i32 s82, s82, s71                                    // 00000000F1C8: 92524752
	s_mul_i32 s61, s60, s61                                    // 00000000F1CC: 923D3D3C
	s_add_u32 s82, s82, s61                                    // 00000000F1D0: 80523D52
	v_mul_lo_u32 v6, v5, s82                                   // 00000000F1D4: D2850006 0000A505
	v_readlane_b32 s82, v3, 1                                  // 00000000F1DC: D2890052 00010303
	s_lshr_b32 s61, s82, 24                                    // 00000000F1E4: 8F3D9852
	s_and_b32 s82, s82, 0xffffff                               // 00000000F1E8: 8652FF52 00FFFFFF
	s_mul_i32 s82, s82, s71                                    // 00000000F1F0: 92524752
	s_mul_i32 s61, s60, s61                                    // 00000000F1F4: 923D3D3C
	s_add_u32 s82, s82, s61                                    // 00000000F1F8: 80523D52
	v_mul_lo_u32 v7, v4, s82                                   // 00000000F1FC: D2850007 0000A504
	v_add_u32_e32 v62, v6, v7                                  // 00000000F204: 687C0F06
	v_readlane_b32 s82, v3, 2                                  // 00000000F208: D2890052 00010503
	s_lshr_b32 s61, s82, 24                                    // 00000000F210: 8F3D9852
	s_and_b32 s82, s82, 0xffffff                               // 00000000F214: 8652FF52 00FFFFFF
	s_mul_i32 s82, s82, s71                                    // 00000000F21C: 92524752
	s_mul_i32 s61, s60, s61                                    // 00000000F220: 923D3D3C
	s_add_u32 s82, s82, s61                                    // 00000000F224: 80523D52
	v_mul_lo_u32 v6, v5, s82                                   // 00000000F228: D2850006 0000A505
	v_readlane_b32 s82, v3, 3                                  // 00000000F230: D2890052 00010703
	s_lshr_b32 s61, s82, 24                                    // 00000000F238: 8F3D9852
	s_and_b32 s82, s82, 0xffffff                               // 00000000F23C: 8652FF52 00FFFFFF
	s_mul_i32 s82, s82, s71                                    // 00000000F244: 92524752
	s_mul_i32 s61, s60, s61                                    // 00000000F248: 923D3D3C
	s_add_u32 s82, s82, s61                                    // 00000000F24C: 80523D52
	v_mul_lo_u32 v7, v4, s82                                   // 00000000F250: D2850007 0000A504
	v_add_u32_e32 v63, v6, v7                                  // 00000000F258: 687E0F06
	v_readlane_b32 s82, v3, 4                                  // 00000000F25C: D2890052 00010903
	s_lshr_b32 s61, s82, 24                                    // 00000000F264: 8F3D9852
	s_and_b32 s82, s82, 0xffffff                               // 00000000F268: 8652FF52 00FFFFFF
	s_mul_i32 s82, s82, s71                                    // 00000000F270: 92524752
	s_mul_i32 s61, s60, s61                                    // 00000000F274: 923D3D3C
	s_add_u32 s82, s82, s61                                    // 00000000F278: 80523D52
	v_mul_lo_u32 v6, v5, s82                                   // 00000000F27C: D2850006 0000A505
	v_readlane_b32 s82, v3, 5                                  // 00000000F284: D2890052 00010B03
	s_lshr_b32 s61, s82, 24                                    // 00000000F28C: 8F3D9852
	s_and_b32 s82, s82, 0xffffff                               // 00000000F290: 8652FF52 00FFFFFF
	s_mul_i32 s82, s82, s71                                    // 00000000F298: 92524752
	s_mul_i32 s61, s60, s61                                    // 00000000F29C: 923D3D3C
	s_add_u32 s82, s82, s61                                    // 00000000F2A0: 80523D52
	v_mul_lo_u32 v7, v4, s82                                   // 00000000F2A4: D2850007 0000A504
	v_add_u32_e32 v64, v6, v7                                  // 00000000F2AC: 68800F06
	v_readlane_b32 s82, v3, 6                                  // 00000000F2B0: D2890052 00010D03
	s_lshr_b32 s61, s82, 24                                    // 00000000F2B8: 8F3D9852
	s_and_b32 s82, s82, 0xffffff                               // 00000000F2BC: 8652FF52 00FFFFFF
	s_mul_i32 s82, s82, s71                                    // 00000000F2C4: 92524752
	s_mul_i32 s61, s60, s61                                    // 00000000F2C8: 923D3D3C
	s_add_u32 s82, s82, s61                                    // 00000000F2CC: 80523D52
	v_mul_lo_u32 v6, v5, s82                                   // 00000000F2D0: D2850006 0000A505
	v_readlane_b32 s82, v3, 7                                  // 00000000F2D8: D2890052 00010F03
	s_lshr_b32 s61, s82, 24                                    // 00000000F2E0: 8F3D9852
	s_and_b32 s82, s82, 0xffffff                               // 00000000F2E4: 8652FF52 00FFFFFF
	s_mul_i32 s82, s82, s71                                    // 00000000F2EC: 92524752
	s_mul_i32 s61, s60, s61                                    // 00000000F2F0: 923D3D3C
	s_add_u32 s82, s82, s61                                    // 00000000F2F4: 80523D52
	v_mul_lo_u32 v7, v4, s82                                   // 00000000F2F8: D2850007 0000A504
	v_add_u32_e32 v65, v6, v7                                  // 00000000F300: 68820F06
	v_readlane_b32 s82, v3, 8                                  // 00000000F304: D2890052 00011103
	s_lshr_b32 s61, s82, 24                                    // 00000000F30C: 8F3D9852
	s_and_b32 s82, s82, 0xffffff                               // 00000000F310: 8652FF52 00FFFFFF
	s_mul_i32 s82, s82, s71                                    // 00000000F318: 92524752
	s_mul_i32 s61, s60, s61                                    // 00000000F31C: 923D3D3C
	s_add_u32 s82, s82, s61                                    // 00000000F320: 80523D52
	v_mul_lo_u32 v6, v5, s82                                   // 00000000F324: D2850006 0000A505
	v_readlane_b32 s82, v3, 9                                  // 00000000F32C: D2890052 00011303
	s_lshr_b32 s61, s82, 24                                    // 00000000F334: 8F3D9852
	s_and_b32 s82, s82, 0xffffff                               // 00000000F338: 8652FF52 00FFFFFF
	s_mul_i32 s82, s82, s71                                    // 00000000F340: 92524752
	s_mul_i32 s61, s60, s61                                    // 00000000F344: 923D3D3C
	s_add_u32 s82, s82, s61                                    // 00000000F348: 80523D52
	v_mul_lo_u32 v7, v4, s82                                   // 00000000F34C: D2850007 0000A504
	v_add_u32_e32 v66, v6, v7                                  // 00000000F354: 68840F06
	v_readlane_b32 s82, v3, 10                                 // 00000000F358: D2890052 00011503
	s_lshr_b32 s61, s82, 24                                    // 00000000F360: 8F3D9852
	s_and_b32 s82, s82, 0xffffff                               // 00000000F364: 8652FF52 00FFFFFF
	s_mul_i32 s82, s82, s71                                    // 00000000F36C: 92524752
	s_mul_i32 s61, s60, s61                                    // 00000000F370: 923D3D3C
	s_add_u32 s82, s82, s61                                    // 00000000F374: 80523D52
	v_mul_lo_u32 v6, v5, s82                                   // 00000000F378: D2850006 0000A505
	v_readlane_b32 s82, v3, 11                                 // 00000000F380: D2890052 00011703
	s_lshr_b32 s61, s82, 24                                    // 00000000F388: 8F3D9852
	s_and_b32 s82, s82, 0xffffff                               // 00000000F38C: 8652FF52 00FFFFFF
	s_mul_i32 s82, s82, s71                                    // 00000000F394: 92524752
	s_mul_i32 s61, s60, s61                                    // 00000000F398: 923D3D3C
	s_add_u32 s82, s82, s61                                    // 00000000F39C: 80523D52
	v_mul_lo_u32 v7, v4, s82                                   // 00000000F3A0: D2850007 0000A504
	v_add_u32_e32 v67, v6, v7                                  // 00000000F3A8: 68860F06
	v_readlane_b32 s82, v3, 12                                 // 00000000F3AC: D2890052 00011903
	s_lshr_b32 s61, s82, 24                                    // 00000000F3B4: 8F3D9852
	s_and_b32 s82, s82, 0xffffff                               // 00000000F3B8: 8652FF52 00FFFFFF
	s_mul_i32 s82, s82, s71                                    // 00000000F3C0: 92524752
	s_mul_i32 s61, s60, s61                                    // 00000000F3C4: 923D3D3C
	s_add_u32 s82, s82, s61                                    // 00000000F3C8: 80523D52
	v_mul_lo_u32 v6, v5, s82                                   // 00000000F3CC: D2850006 0000A505
	v_readlane_b32 s82, v3, 13                                 // 00000000F3D4: D2890052 00011B03
	s_lshr_b32 s61, s82, 24                                    // 00000000F3DC: 8F3D9852
	s_and_b32 s82, s82, 0xffffff                               // 00000000F3E0: 8652FF52 00FFFFFF
	s_mul_i32 s82, s82, s71                                    // 00000000F3E8: 92524752
	s_mul_i32 s61, s60, s61                                    // 00000000F3EC: 923D3D3C
	s_add_u32 s82, s82, s61                                    // 00000000F3F0: 80523D52
	v_mul_lo_u32 v7, v4, s82                                   // 00000000F3F4: D2850007 0000A504
	v_add_u32_e32 v68, v6, v7                                  // 00000000F3FC: 68880F06
	v_readlane_b32 s82, v3, 14                                 // 00000000F400: D2890052 00011D03
	s_lshr_b32 s61, s82, 24                                    // 00000000F408: 8F3D9852
	s_and_b32 s82, s82, 0xffffff                               // 00000000F40C: 8652FF52 00FFFFFF
	s_mul_i32 s82, s82, s71                                    // 00000000F414: 92524752
	s_mul_i32 s61, s60, s61                                    // 00000000F418: 923D3D3C
	s_add_u32 s82, s82, s61                                    // 00000000F41C: 80523D52
	v_mul_lo_u32 v6, v5, s82                                   // 00000000F420: D2850006 0000A505
	v_readlane_b32 s82, v3, 15                                 // 00000000F428: D2890052 00011F03
	s_lshr_b32 s61, s82, 24                                    // 00000000F430: 8F3D9852
	s_and_b32 s82, s82, 0xffffff                               // 00000000F434: 8652FF52 00FFFFFF
	s_mul_i32 s82, s82, s71                                    // 00000000F43C: 92524752
	s_mul_i32 s61, s60, s61                                    // 00000000F440: 923D3D3C
	s_add_u32 s82, s82, s61                                    // 00000000F444: 80523D52
	v_mul_lo_u32 v7, v4, s82                                   // 00000000F448: D2850007 0000A504
	v_add_u32_e32 v69, v6, v7                                  // 00000000F450: 688A0F06
	v_readlane_b32 s82, v3, 16                                 // 00000000F454: D2890052 00012103
	s_lshr_b32 s61, s82, 24                                    // 00000000F45C: 8F3D9852
	s_and_b32 s82, s82, 0xffffff                               // 00000000F460: 8652FF52 00FFFFFF
	s_mul_i32 s82, s82, s71                                    // 00000000F468: 92524752
	s_mul_i32 s61, s60, s61                                    // 00000000F46C: 923D3D3C
	s_add_u32 s82, s82, s61                                    // 00000000F470: 80523D52
	v_mul_lo_u32 v6, v5, s82                                   // 00000000F474: D2850006 0000A505
	v_readlane_b32 s82, v3, 17                                 // 00000000F47C: D2890052 00012303
	s_lshr_b32 s61, s82, 24                                    // 00000000F484: 8F3D9852
	s_and_b32 s82, s82, 0xffffff                               // 00000000F488: 8652FF52 00FFFFFF
	s_mul_i32 s82, s82, s71                                    // 00000000F490: 92524752
	s_mul_i32 s61, s60, s61                                    // 00000000F494: 923D3D3C
	s_add_u32 s82, s82, s61                                    // 00000000F498: 80523D52
	v_mul_lo_u32 v7, v4, s82                                   // 00000000F49C: D2850007 0000A504
	v_add_u32_e32 v70, v6, v7                                  // 00000000F4A4: 688C0F06
	v_readlane_b32 s82, v3, 18                                 // 00000000F4A8: D2890052 00012503
	s_lshr_b32 s61, s82, 24                                    // 00000000F4B0: 8F3D9852
	s_and_b32 s82, s82, 0xffffff                               // 00000000F4B4: 8652FF52 00FFFFFF
	s_mul_i32 s82, s82, s71                                    // 00000000F4BC: 92524752
	s_mul_i32 s61, s60, s61                                    // 00000000F4C0: 923D3D3C
	s_add_u32 s82, s82, s61                                    // 00000000F4C4: 80523D52
	v_mul_lo_u32 v6, v5, s82                                   // 00000000F4C8: D2850006 0000A505
	v_readlane_b32 s82, v3, 19                                 // 00000000F4D0: D2890052 00012703
	s_lshr_b32 s61, s82, 24                                    // 00000000F4D8: 8F3D9852
	s_and_b32 s82, s82, 0xffffff                               // 00000000F4DC: 8652FF52 00FFFFFF
	s_mul_i32 s82, s82, s71                                    // 00000000F4E4: 92524752
	s_mul_i32 s61, s60, s61                                    // 00000000F4E8: 923D3D3C
	s_add_u32 s82, s82, s61                                    // 00000000F4EC: 80523D52
	v_mul_lo_u32 v7, v4, s82                                   // 00000000F4F0: D2850007 0000A504
	v_add_u32_e32 v71, v6, v7                                  // 00000000F4F8: 688E0F06
	v_readlane_b32 s82, v3, 20                                 // 00000000F4FC: D2890052 00012903
	s_lshr_b32 s61, s82, 24                                    // 00000000F504: 8F3D9852
	s_and_b32 s82, s82, 0xffffff                               // 00000000F508: 8652FF52 00FFFFFF
	s_mul_i32 s82, s82, s71                                    // 00000000F510: 92524752
	s_mul_i32 s61, s60, s61                                    // 00000000F514: 923D3D3C
	s_add_u32 s82, s82, s61                                    // 00000000F518: 80523D52
	v_mul_lo_u32 v6, v5, s82                                   // 00000000F51C: D2850006 0000A505
	v_readlane_b32 s82, v3, 21                                 // 00000000F524: D2890052 00012B03
	s_lshr_b32 s61, s82, 24                                    // 00000000F52C: 8F3D9852
	s_and_b32 s82, s82, 0xffffff                               // 00000000F530: 8652FF52 00FFFFFF
	s_mul_i32 s82, s82, s71                                    // 00000000F538: 92524752
	s_mul_i32 s61, s60, s61                                    // 00000000F53C: 923D3D3C
	s_add_u32 s82, s82, s61                                    // 00000000F540: 80523D52
	v_mul_lo_u32 v7, v4, s82                                   // 00000000F544: D2850007 0000A504
	v_add_u32_e32 v72, v6, v7                                  // 00000000F54C: 68900F06
	v_readlane_b32 s82, v3, 22                                 // 00000000F550: D2890052 00012D03
	s_lshr_b32 s61, s82, 24                                    // 00000000F558: 8F3D9852
	s_and_b32 s82, s82, 0xffffff                               // 00000000F55C: 8652FF52 00FFFFFF
	s_mul_i32 s82, s82, s71                                    // 00000000F564: 92524752
	s_mul_i32 s61, s60, s61                                    // 00000000F568: 923D3D3C
	s_add_u32 s82, s82, s61                                    // 00000000F56C: 80523D52
	v_mul_lo_u32 v6, v5, s82                                   // 00000000F570: D2850006 0000A505
	v_readlane_b32 s82, v3, 23                                 // 00000000F578: D2890052 00012F03
	s_lshr_b32 s61, s82, 24                                    // 00000000F580: 8F3D9852
	s_and_b32 s82, s82, 0xffffff                               // 00000000F584: 8652FF52 00FFFFFF
	s_mul_i32 s82, s82, s71                                    // 00000000F58C: 92524752
	s_mul_i32 s61, s60, s61                                    // 00000000F590: 923D3D3C
	s_add_u32 s82, s82, s61                                    // 00000000F594: 80523D52
	v_mul_lo_u32 v7, v4, s82                                   // 00000000F598: D2850007 0000A504
	v_add_u32_e32 v73, v6, v7                                  // 00000000F5A0: 68920F06
	v_readlane_b32 s82, v3, 24                                 // 00000000F5A4: D2890052 00013103
	s_lshr_b32 s61, s82, 24                                    // 00000000F5AC: 8F3D9852
	s_and_b32 s82, s82, 0xffffff                               // 00000000F5B0: 8652FF52 00FFFFFF
	s_mul_i32 s82, s82, s71                                    // 00000000F5B8: 92524752
	s_mul_i32 s61, s60, s61                                    // 00000000F5BC: 923D3D3C
	s_add_u32 s82, s82, s61                                    // 00000000F5C0: 80523D52
	v_mul_lo_u32 v6, v5, s82                                   // 00000000F5C4: D2850006 0000A505
	v_readlane_b32 s82, v3, 25                                 // 00000000F5CC: D2890052 00013303
	s_lshr_b32 s61, s82, 24                                    // 00000000F5D4: 8F3D9852
	s_and_b32 s82, s82, 0xffffff                               // 00000000F5D8: 8652FF52 00FFFFFF
	s_mul_i32 s82, s82, s71                                    // 00000000F5E0: 92524752
	s_mul_i32 s61, s60, s61                                    // 00000000F5E4: 923D3D3C
	s_add_u32 s82, s82, s61                                    // 00000000F5E8: 80523D52
	v_mul_lo_u32 v7, v4, s82                                   // 00000000F5EC: D2850007 0000A504
	v_add_u32_e32 v74, v6, v7                                  // 00000000F5F4: 68940F06
	v_readlane_b32 s82, v3, 26                                 // 00000000F5F8: D2890052 00013503
	s_lshr_b32 s61, s82, 24                                    // 00000000F600: 8F3D9852
	s_and_b32 s82, s82, 0xffffff                               // 00000000F604: 8652FF52 00FFFFFF
	s_mul_i32 s82, s82, s71                                    // 00000000F60C: 92524752
	s_mul_i32 s61, s60, s61                                    // 00000000F610: 923D3D3C
	s_add_u32 s82, s82, s61                                    // 00000000F614: 80523D52
	v_mul_lo_u32 v6, v5, s82                                   // 00000000F618: D2850006 0000A505
	v_readlane_b32 s82, v3, 27                                 // 00000000F620: D2890052 00013703
	s_lshr_b32 s61, s82, 24                                    // 00000000F628: 8F3D9852
	s_and_b32 s82, s82, 0xffffff                               // 00000000F62C: 8652FF52 00FFFFFF
	s_mul_i32 s82, s82, s71                                    // 00000000F634: 92524752
	s_mul_i32 s61, s60, s61                                    // 00000000F638: 923D3D3C
	s_add_u32 s82, s82, s61                                    // 00000000F63C: 80523D52
	v_mul_lo_u32 v7, v4, s82                                   // 00000000F640: D2850007 0000A504
	v_add_u32_e32 v75, v6, v7                                  // 00000000F648: 68960F06
	v_readlane_b32 s82, v3, 28                                 // 00000000F64C: D2890052 00013903
	s_lshr_b32 s61, s82, 24                                    // 00000000F654: 8F3D9852
	s_and_b32 s82, s82, 0xffffff                               // 00000000F658: 8652FF52 00FFFFFF
	s_mul_i32 s82, s82, s71                                    // 00000000F660: 92524752
	s_mul_i32 s61, s60, s61                                    // 00000000F664: 923D3D3C
	s_add_u32 s82, s82, s61                                    // 00000000F668: 80523D52
	v_mul_lo_u32 v6, v5, s82                                   // 00000000F66C: D2850006 0000A505
	v_readlane_b32 s82, v3, 29                                 // 00000000F674: D2890052 00013B03
	s_lshr_b32 s61, s82, 24                                    // 00000000F67C: 8F3D9852
	s_and_b32 s82, s82, 0xffffff                               // 00000000F680: 8652FF52 00FFFFFF
	s_mul_i32 s82, s82, s71                                    // 00000000F688: 92524752
	s_mul_i32 s61, s60, s61                                    // 00000000F68C: 923D3D3C
	s_add_u32 s82, s82, s61                                    // 00000000F690: 80523D52
	v_mul_lo_u32 v7, v4, s82                                   // 00000000F694: D2850007 0000A504
	v_add_u32_e32 v76, v6, v7                                  // 00000000F69C: 68980F06
	v_readlane_b32 s82, v3, 30                                 // 00000000F6A0: D2890052 00013D03
	s_lshr_b32 s61, s82, 24                                    // 00000000F6A8: 8F3D9852
	s_and_b32 s82, s82, 0xffffff                               // 00000000F6AC: 8652FF52 00FFFFFF
	s_mul_i32 s82, s82, s71                                    // 00000000F6B4: 92524752
	s_mul_i32 s61, s60, s61                                    // 00000000F6B8: 923D3D3C
	s_add_u32 s82, s82, s61                                    // 00000000F6BC: 80523D52
	v_mul_lo_u32 v6, v5, s82                                   // 00000000F6C0: D2850006 0000A505
	v_readlane_b32 s82, v3, 31                                 // 00000000F6C8: D2890052 00013F03
	s_lshr_b32 s61, s82, 24                                    // 00000000F6D0: 8F3D9852
	s_and_b32 s82, s82, 0xffffff                               // 00000000F6D4: 8652FF52 00FFFFFF
	s_mul_i32 s82, s82, s71                                    // 00000000F6DC: 92524752
	s_mul_i32 s61, s60, s61                                    // 00000000F6E0: 923D3D3C
	s_add_u32 s82, s82, s61                                    // 00000000F6E4: 80523D52
	v_mul_lo_u32 v7, v4, s82                                   // 00000000F6E8: D2850007 0000A504
	v_add_u32_e32 v77, v6, v7                                  // 00000000F6F0: 689A0F06
	v_and_b32_e32 v4, 31, v0                                   // 00000000F6F4: 2608009F
	v_lshrrev_b32_e32 v4, 1, v4                                // 00000000F6F8: 20080881
	s_cmp_eq_u32 s88, 0                                        // 00000000F6FC: BF068058
	s_cselect_b32 s61, 2, 4                                    // 00000000F700: 853D8482
	v_mul_lo_u32 v4, v4, s61                                   // 00000000F704: D2850004 00007B04
	v_and_b32_e64 v5, v0, 1                                    // 00000000F70C: D1130005 00010300
	v_add_u32_e32 v4, v4, v5                                   // 00000000F714: 68080B04
	v_lshlrev_b32_e32 v4, 2, v4                                // 00000000F718: 24080882
	v_add_u32_e32 v62, v62, v4                                 // 00000000F71C: 687C093E
	v_add_u32_e32 v63, v63, v4                                 // 00000000F720: 687E093F
	v_add_u32_e32 v64, v64, v4                                 // 00000000F724: 68800940
	v_add_u32_e32 v65, v65, v4                                 // 00000000F728: 68820941
	v_add_u32_e32 v66, v66, v4                                 // 00000000F72C: 68840942
	v_add_u32_e32 v67, v67, v4                                 // 00000000F730: 68860943
	v_add_u32_e32 v68, v68, v4                                 // 00000000F734: 68880944
	v_add_u32_e32 v69, v69, v4                                 // 00000000F738: 688A0945
	v_add_u32_e32 v70, v70, v4                                 // 00000000F73C: 688C0946
	v_add_u32_e32 v71, v71, v4                                 // 00000000F740: 688E0947
	v_add_u32_e32 v72, v72, v4                                 // 00000000F744: 68900948
	v_add_u32_e32 v73, v73, v4                                 // 00000000F748: 68920949
	v_add_u32_e32 v74, v74, v4                                 // 00000000F74C: 6894094A
	v_add_u32_e32 v75, v75, v4                                 // 00000000F750: 6896094B
	v_add_u32_e32 v76, v76, v4                                 // 00000000F754: 6898094C
	v_add_u32_e32 v77, v77, v4                                 // 00000000F758: 689A094D
	s_waitcnt lgkmcnt(0)                                       // 00000000F75C: BF8CC07F
	s_barrier                                                  // 00000000F760: BF8A0000
	ds_read_b32 v80, v21                                       // 00000000F764: D86C0000 50000015
	ds_read_b32 v81, v21 offset:64                             // 00000000F76C: D86C0040 51000015
	ds_read_b32 v82, v21 offset:2176                           // 00000000F774: D86C0880 52000015
	ds_read_b32 v83, v21 offset:2240                           // 00000000F77C: D86C08C0 53000015
	ds_read_b32 v84, v21 offset:4352                           // 00000000F784: D86C1100 54000015
	ds_read_b32 v85, v21 offset:4416                           // 00000000F78C: D86C1140 55000015
	ds_read_b32 v86, v21 offset:6528                           // 00000000F794: D86C1980 56000015
	ds_read_b32 v87, v21 offset:6592                           // 00000000F79C: D86C19C0 57000015
	ds_read_b32 v88, v21 offset:8704                           // 00000000F7A4: D86C2200 58000015
	ds_read_b32 v89, v21 offset:8768                           // 00000000F7AC: D86C2240 59000015
	ds_read_b32 v90, v21 offset:10880                          // 00000000F7B4: D86C2A80 5A000015
	ds_read_b32 v91, v21 offset:10944                          // 00000000F7BC: D86C2AC0 5B000015
	ds_read_b32 v92, v21 offset:13056                          // 00000000F7C4: D86C3300 5C000015
	ds_read_b32 v93, v21 offset:13120                          // 00000000F7CC: D86C3340 5D000015
	ds_read_b32 v94, v21 offset:15232                          // 00000000F7D4: D86C3B80 5E000015
	ds_read_b32 v95, v21 offset:15296                          // 00000000F7DC: D86C3BC0 5F000015
	ds_read_b32 v96, v21 offset:17408                          // 00000000F7E4: D86C4400 60000015
	ds_read_b32 v97, v21 offset:17472                          // 00000000F7EC: D86C4440 61000015
	ds_read_b32 v98, v21 offset:19584                          // 00000000F7F4: D86C4C80 62000015
	ds_read_b32 v99, v21 offset:19648                          // 00000000F7FC: D86C4CC0 63000015
	ds_read_b32 v100, v21 offset:21760                         // 00000000F804: D86C5500 64000015
	ds_read_b32 v101, v21 offset:21824                         // 00000000F80C: D86C5540 65000015
	ds_read_b32 v102, v21 offset:23936                         // 00000000F814: D86C5D80 66000015
	ds_read_b32 v103, v21 offset:24000                         // 00000000F81C: D86C5DC0 67000015
	ds_read_b32 v104, v21 offset:26112                         // 00000000F824: D86C6600 68000015
	ds_read_b32 v105, v21 offset:26176                         // 00000000F82C: D86C6640 69000015
	ds_read_b32 v106, v21 offset:28288                         // 00000000F834: D86C6E80 6A000015
	ds_read_b32 v107, v21 offset:28352                         // 00000000F83C: D86C6EC0 6B000015
	ds_read_b32 v108, v21 offset:30464                         // 00000000F844: D86C7700 6C000015
	ds_read_b32 v109, v21 offset:30528                         // 00000000F84C: D86C7740 6D000015
	ds_read_b32 v110, v21 offset:32640                         // 00000000F854: D86C7F80 6E000015
	ds_read_b32 v111, v21 offset:32704                         // 00000000F85C: D86C7FC0 6F000015
	s_waitcnt lgkmcnt(0)                                       // 00000000F864: BF8CC07F
	s_mov_b32 s36, -1                                          // 00000000F868: BEA400C1
	s_mov_b32 s37, -1                                          // 00000000F86C: BEA500C1
	v_mov_b32_e32 v7, 0                                        // 00000000F870: 7E0E0280
	s_or_b32 s9, s9, 0x40000                                   // 00000000F874: 8709FF09 00040000
	s_mov_b64 exec, s[36:37]                                   // 00000000F87C: BEFE0124
	v_mov_b32_e32 v6, v62                                      // 00000000F880: 7E0C033E
	s_mov_b64 s[60:61], 0                                      // 00000000F884: BEBC0180
	v_readlane_b32 s82, v3, 0                                  // 00000000F888: D2890052 00010103
	s_and_b32 s82, s82, 0xffffff                               // 00000000F890: 8652FF52 00FFFFFF
	s_cmp_lt_u32 s82, s66                                      // 00000000F898: BF0A4252
	s_cselect_b32 s20, s36, s60                                // 00000000F89C: 85143C24
	v_readlane_b32 s82, v3, 1                                  // 00000000F8A0: D2890052 00010303
	s_and_b32 s82, s82, 0xffffff                               // 00000000F8A8: 8652FF52 00FFFFFF
	s_cmp_lt_u32 s82, s66                                      // 00000000F8B0: BF0A4252
	s_cselect_b32 s21, s36, s60                                // 00000000F8B4: 85153C24
	s_mov_b64 exec, s[20:21]                                   // 00000000F8B8: BEFE0114
	buffer_store_dword v80, v6, s[8:11], 0 offen               // 00000000F8BC: E0701000 80025006
	buffer_store_dword v82, v6, s[8:11], 0 offen offset:128    // 00000000F8C4: E0701080 80025206
	s_mov_b64 exec, s[36:37]                                   // 00000000F8CC: BEFE0124
	v_mov_b32_e32 v6, v63                                      // 00000000F8D0: 7E0C033F
	s_mov_b64 s[60:61], 0                                      // 00000000F8D4: BEBC0180
	v_readlane_b32 s82, v3, 2                                  // 00000000F8D8: D2890052 00010503
	s_and_b32 s82, s82, 0xffffff                               // 00000000F8E0: 8652FF52 00FFFFFF
	s_cmp_lt_u32 s82, s66                                      // 00000000F8E8: BF0A4252
	s_cselect_b32 s20, s36, s60                                // 00000000F8EC: 85143C24
	v_readlane_b32 s82, v3, 3                                  // 00000000F8F0: D2890052 00010703
	s_and_b32 s82, s82, 0xffffff                               // 00000000F8F8: 8652FF52 00FFFFFF
	s_cmp_lt_u32 s82, s66                                      // 00000000F900: BF0A4252
	s_cselect_b32 s21, s36, s60                                // 00000000F904: 85153C24
	s_mov_b64 exec, s[20:21]                                   // 00000000F908: BEFE0114
	buffer_store_dword v81, v6, s[8:11], 0 offen               // 00000000F90C: E0701000 80025106
	buffer_store_dword v83, v6, s[8:11], 0 offen offset:128    // 00000000F914: E0701080 80025306
	s_mov_b64 exec, s[36:37]                                   // 00000000F91C: BEFE0124
	v_mov_b32_e32 v6, v64                                      // 00000000F920: 7E0C0340
	s_mov_b64 s[60:61], 0                                      // 00000000F924: BEBC0180
	v_readlane_b32 s82, v3, 4                                  // 00000000F928: D2890052 00010903
	s_and_b32 s82, s82, 0xffffff                               // 00000000F930: 8652FF52 00FFFFFF
	s_cmp_lt_u32 s82, s66                                      // 00000000F938: BF0A4252
	s_cselect_b32 s20, s36, s60                                // 00000000F93C: 85143C24
	v_readlane_b32 s82, v3, 5                                  // 00000000F940: D2890052 00010B03
	s_and_b32 s82, s82, 0xffffff                               // 00000000F948: 8652FF52 00FFFFFF
	s_cmp_lt_u32 s82, s66                                      // 00000000F950: BF0A4252
	s_cselect_b32 s21, s36, s60                                // 00000000F954: 85153C24
	s_mov_b64 exec, s[20:21]                                   // 00000000F958: BEFE0114
	buffer_store_dword v84, v6, s[8:11], 0 offen               // 00000000F95C: E0701000 80025406
	buffer_store_dword v86, v6, s[8:11], 0 offen offset:128    // 00000000F964: E0701080 80025606
	s_mov_b64 exec, s[36:37]                                   // 00000000F96C: BEFE0124
	v_mov_b32_e32 v6, v65                                      // 00000000F970: 7E0C0341
	s_mov_b64 s[60:61], 0                                      // 00000000F974: BEBC0180
	v_readlane_b32 s82, v3, 6                                  // 00000000F978: D2890052 00010D03
	s_and_b32 s82, s82, 0xffffff                               // 00000000F980: 8652FF52 00FFFFFF
	s_cmp_lt_u32 s82, s66                                      // 00000000F988: BF0A4252
	s_cselect_b32 s20, s36, s60                                // 00000000F98C: 85143C24
	v_readlane_b32 s82, v3, 7                                  // 00000000F990: D2890052 00010F03
	s_and_b32 s82, s82, 0xffffff                               // 00000000F998: 8652FF52 00FFFFFF
	s_cmp_lt_u32 s82, s66                                      // 00000000F9A0: BF0A4252
	s_cselect_b32 s21, s36, s60                                // 00000000F9A4: 85153C24
	s_mov_b64 exec, s[20:21]                                   // 00000000F9A8: BEFE0114
	buffer_store_dword v85, v6, s[8:11], 0 offen               // 00000000F9AC: E0701000 80025506
	buffer_store_dword v87, v6, s[8:11], 0 offen offset:128    // 00000000F9B4: E0701080 80025706
	s_mov_b64 exec, s[36:37]                                   // 00000000F9BC: BEFE0124
	v_mov_b32_e32 v6, v66                                      // 00000000F9C0: 7E0C0342
	s_mov_b64 s[60:61], 0                                      // 00000000F9C4: BEBC0180
	v_readlane_b32 s82, v3, 8                                  // 00000000F9C8: D2890052 00011103
	s_and_b32 s82, s82, 0xffffff                               // 00000000F9D0: 8652FF52 00FFFFFF
	s_cmp_lt_u32 s82, s66                                      // 00000000F9D8: BF0A4252
	s_cselect_b32 s20, s36, s60                                // 00000000F9DC: 85143C24
	v_readlane_b32 s82, v3, 9                                  // 00000000F9E0: D2890052 00011303
	s_and_b32 s82, s82, 0xffffff                               // 00000000F9E8: 8652FF52 00FFFFFF
	s_cmp_lt_u32 s82, s66                                      // 00000000F9F0: BF0A4252
	s_cselect_b32 s21, s36, s60                                // 00000000F9F4: 85153C24
	s_mov_b64 exec, s[20:21]                                   // 00000000F9F8: BEFE0114
	buffer_store_dword v88, v6, s[8:11], 0 offen               // 00000000F9FC: E0701000 80025806
	buffer_store_dword v90, v6, s[8:11], 0 offen offset:128    // 00000000FA04: E0701080 80025A06
	s_mov_b64 exec, s[36:37]                                   // 00000000FA0C: BEFE0124
	v_mov_b32_e32 v6, v67                                      // 00000000FA10: 7E0C0343
	s_mov_b64 s[60:61], 0                                      // 00000000FA14: BEBC0180
	v_readlane_b32 s82, v3, 10                                 // 00000000FA18: D2890052 00011503
	s_and_b32 s82, s82, 0xffffff                               // 00000000FA20: 8652FF52 00FFFFFF
	s_cmp_lt_u32 s82, s66                                      // 00000000FA28: BF0A4252
	s_cselect_b32 s20, s36, s60                                // 00000000FA2C: 85143C24
	v_readlane_b32 s82, v3, 11                                 // 00000000FA30: D2890052 00011703
	s_and_b32 s82, s82, 0xffffff                               // 00000000FA38: 8652FF52 00FFFFFF
	s_cmp_lt_u32 s82, s66                                      // 00000000FA40: BF0A4252
	s_cselect_b32 s21, s36, s60                                // 00000000FA44: 85153C24
	s_mov_b64 exec, s[20:21]                                   // 00000000FA48: BEFE0114
	buffer_store_dword v89, v6, s[8:11], 0 offen               // 00000000FA4C: E0701000 80025906
	buffer_store_dword v91, v6, s[8:11], 0 offen offset:128    // 00000000FA54: E0701080 80025B06
	s_mov_b64 exec, s[36:37]                                   // 00000000FA5C: BEFE0124
	v_mov_b32_e32 v6, v68                                      // 00000000FA60: 7E0C0344
	s_mov_b64 s[60:61], 0                                      // 00000000FA64: BEBC0180
	v_readlane_b32 s82, v3, 12                                 // 00000000FA68: D2890052 00011903
	s_and_b32 s82, s82, 0xffffff                               // 00000000FA70: 8652FF52 00FFFFFF
	s_cmp_lt_u32 s82, s66                                      // 00000000FA78: BF0A4252
	s_cselect_b32 s20, s36, s60                                // 00000000FA7C: 85143C24
	v_readlane_b32 s82, v3, 13                                 // 00000000FA80: D2890052 00011B03
	s_and_b32 s82, s82, 0xffffff                               // 00000000FA88: 8652FF52 00FFFFFF
	s_cmp_lt_u32 s82, s66                                      // 00000000FA90: BF0A4252
	s_cselect_b32 s21, s36, s60                                // 00000000FA94: 85153C24
	s_mov_b64 exec, s[20:21]                                   // 00000000FA98: BEFE0114
	buffer_store_dword v92, v6, s[8:11], 0 offen               // 00000000FA9C: E0701000 80025C06
	buffer_store_dword v94, v6, s[8:11], 0 offen offset:128    // 00000000FAA4: E0701080 80025E06
	s_mov_b64 exec, s[36:37]                                   // 00000000FAAC: BEFE0124
	v_mov_b32_e32 v6, v69                                      // 00000000FAB0: 7E0C0345
	s_mov_b64 s[60:61], 0                                      // 00000000FAB4: BEBC0180
	v_readlane_b32 s82, v3, 14                                 // 00000000FAB8: D2890052 00011D03
	s_and_b32 s82, s82, 0xffffff                               // 00000000FAC0: 8652FF52 00FFFFFF
	s_cmp_lt_u32 s82, s66                                      // 00000000FAC8: BF0A4252
	s_cselect_b32 s20, s36, s60                                // 00000000FACC: 85143C24
	v_readlane_b32 s82, v3, 15                                 // 00000000FAD0: D2890052 00011F03
	s_and_b32 s82, s82, 0xffffff                               // 00000000FAD8: 8652FF52 00FFFFFF
	s_cmp_lt_u32 s82, s66                                      // 00000000FAE0: BF0A4252
	s_cselect_b32 s21, s36, s60                                // 00000000FAE4: 85153C24
	s_mov_b64 exec, s[20:21]                                   // 00000000FAE8: BEFE0114
	buffer_store_dword v93, v6, s[8:11], 0 offen               // 00000000FAEC: E0701000 80025D06
	buffer_store_dword v95, v6, s[8:11], 0 offen offset:128    // 00000000FAF4: E0701080 80025F06
	s_mov_b64 exec, s[36:37]                                   // 00000000FAFC: BEFE0124
	v_mov_b32_e32 v6, v70                                      // 00000000FB00: 7E0C0346
	s_mov_b64 s[60:61], 0                                      // 00000000FB04: BEBC0180
	v_readlane_b32 s82, v3, 16                                 // 00000000FB08: D2890052 00012103
	s_and_b32 s82, s82, 0xffffff                               // 00000000FB10: 8652FF52 00FFFFFF
	s_cmp_lt_u32 s82, s66                                      // 00000000FB18: BF0A4252
	s_cselect_b32 s20, s36, s60                                // 00000000FB1C: 85143C24
	v_readlane_b32 s82, v3, 17                                 // 00000000FB20: D2890052 00012303
	s_and_b32 s82, s82, 0xffffff                               // 00000000FB28: 8652FF52 00FFFFFF
	s_cmp_lt_u32 s82, s66                                      // 00000000FB30: BF0A4252
	s_cselect_b32 s21, s36, s60                                // 00000000FB34: 85153C24
	s_mov_b64 exec, s[20:21]                                   // 00000000FB38: BEFE0114
	buffer_store_dword v96, v6, s[8:11], 0 offen               // 00000000FB3C: E0701000 80026006
	buffer_store_dword v98, v6, s[8:11], 0 offen offset:128    // 00000000FB44: E0701080 80026206
	s_mov_b64 exec, s[36:37]                                   // 00000000FB4C: BEFE0124
	v_mov_b32_e32 v6, v71                                      // 00000000FB50: 7E0C0347
	s_mov_b64 s[60:61], 0                                      // 00000000FB54: BEBC0180
	v_readlane_b32 s82, v3, 18                                 // 00000000FB58: D2890052 00012503
	s_and_b32 s82, s82, 0xffffff                               // 00000000FB60: 8652FF52 00FFFFFF
	s_cmp_lt_u32 s82, s66                                      // 00000000FB68: BF0A4252
	s_cselect_b32 s20, s36, s60                                // 00000000FB6C: 85143C24
	v_readlane_b32 s82, v3, 19                                 // 00000000FB70: D2890052 00012703
	s_and_b32 s82, s82, 0xffffff                               // 00000000FB78: 8652FF52 00FFFFFF
	s_cmp_lt_u32 s82, s66                                      // 00000000FB80: BF0A4252
	s_cselect_b32 s21, s36, s60                                // 00000000FB84: 85153C24
	s_mov_b64 exec, s[20:21]                                   // 00000000FB88: BEFE0114
	buffer_store_dword v97, v6, s[8:11], 0 offen               // 00000000FB8C: E0701000 80026106
	buffer_store_dword v99, v6, s[8:11], 0 offen offset:128    // 00000000FB94: E0701080 80026306
	s_mov_b64 exec, s[36:37]                                   // 00000000FB9C: BEFE0124
	v_mov_b32_e32 v6, v72                                      // 00000000FBA0: 7E0C0348
	s_mov_b64 s[60:61], 0                                      // 00000000FBA4: BEBC0180
	v_readlane_b32 s82, v3, 20                                 // 00000000FBA8: D2890052 00012903
	s_and_b32 s82, s82, 0xffffff                               // 00000000FBB0: 8652FF52 00FFFFFF
	s_cmp_lt_u32 s82, s66                                      // 00000000FBB8: BF0A4252
	s_cselect_b32 s20, s36, s60                                // 00000000FBBC: 85143C24
	v_readlane_b32 s82, v3, 21                                 // 00000000FBC0: D2890052 00012B03
	s_and_b32 s82, s82, 0xffffff                               // 00000000FBC8: 8652FF52 00FFFFFF
	s_cmp_lt_u32 s82, s66                                      // 00000000FBD0: BF0A4252
	s_cselect_b32 s21, s36, s60                                // 00000000FBD4: 85153C24
	s_mov_b64 exec, s[20:21]                                   // 00000000FBD8: BEFE0114
	buffer_store_dword v100, v6, s[8:11], 0 offen              // 00000000FBDC: E0701000 80026406
	buffer_store_dword v102, v6, s[8:11], 0 offen offset:128   // 00000000FBE4: E0701080 80026606
	s_mov_b64 exec, s[36:37]                                   // 00000000FBEC: BEFE0124
	v_mov_b32_e32 v6, v73                                      // 00000000FBF0: 7E0C0349
	s_mov_b64 s[60:61], 0                                      // 00000000FBF4: BEBC0180
	v_readlane_b32 s82, v3, 22                                 // 00000000FBF8: D2890052 00012D03
	s_and_b32 s82, s82, 0xffffff                               // 00000000FC00: 8652FF52 00FFFFFF
	s_cmp_lt_u32 s82, s66                                      // 00000000FC08: BF0A4252
	s_cselect_b32 s20, s36, s60                                // 00000000FC0C: 85143C24
	v_readlane_b32 s82, v3, 23                                 // 00000000FC10: D2890052 00012F03
	s_and_b32 s82, s82, 0xffffff                               // 00000000FC18: 8652FF52 00FFFFFF
	s_cmp_lt_u32 s82, s66                                      // 00000000FC20: BF0A4252
	s_cselect_b32 s21, s36, s60                                // 00000000FC24: 85153C24
	s_mov_b64 exec, s[20:21]                                   // 00000000FC28: BEFE0114
	buffer_store_dword v101, v6, s[8:11], 0 offen              // 00000000FC2C: E0701000 80026506
	buffer_store_dword v103, v6, s[8:11], 0 offen offset:128   // 00000000FC34: E0701080 80026706
	s_mov_b64 exec, s[36:37]                                   // 00000000FC3C: BEFE0124
	v_mov_b32_e32 v6, v74                                      // 00000000FC40: 7E0C034A
	s_mov_b64 s[60:61], 0                                      // 00000000FC44: BEBC0180
	v_readlane_b32 s82, v3, 24                                 // 00000000FC48: D2890052 00013103
	s_and_b32 s82, s82, 0xffffff                               // 00000000FC50: 8652FF52 00FFFFFF
	s_cmp_lt_u32 s82, s66                                      // 00000000FC58: BF0A4252
	s_cselect_b32 s20, s36, s60                                // 00000000FC5C: 85143C24
	v_readlane_b32 s82, v3, 25                                 // 00000000FC60: D2890052 00013303
	s_and_b32 s82, s82, 0xffffff                               // 00000000FC68: 8652FF52 00FFFFFF
	s_cmp_lt_u32 s82, s66                                      // 00000000FC70: BF0A4252
	s_cselect_b32 s21, s36, s60                                // 00000000FC74: 85153C24
	s_mov_b64 exec, s[20:21]                                   // 00000000FC78: BEFE0114
	buffer_store_dword v104, v6, s[8:11], 0 offen              // 00000000FC7C: E0701000 80026806
	buffer_store_dword v106, v6, s[8:11], 0 offen offset:128   // 00000000FC84: E0701080 80026A06
	s_mov_b64 exec, s[36:37]                                   // 00000000FC8C: BEFE0124
	v_mov_b32_e32 v6, v75                                      // 00000000FC90: 7E0C034B
	s_mov_b64 s[60:61], 0                                      // 00000000FC94: BEBC0180
	v_readlane_b32 s82, v3, 26                                 // 00000000FC98: D2890052 00013503
	s_and_b32 s82, s82, 0xffffff                               // 00000000FCA0: 8652FF52 00FFFFFF
	s_cmp_lt_u32 s82, s66                                      // 00000000FCA8: BF0A4252
	s_cselect_b32 s20, s36, s60                                // 00000000FCAC: 85143C24
	v_readlane_b32 s82, v3, 27                                 // 00000000FCB0: D2890052 00013703
	s_and_b32 s82, s82, 0xffffff                               // 00000000FCB8: 8652FF52 00FFFFFF
	s_cmp_lt_u32 s82, s66                                      // 00000000FCC0: BF0A4252
	s_cselect_b32 s21, s36, s60                                // 00000000FCC4: 85153C24
	s_mov_b64 exec, s[20:21]                                   // 00000000FCC8: BEFE0114
	buffer_store_dword v105, v6, s[8:11], 0 offen              // 00000000FCCC: E0701000 80026906
	buffer_store_dword v107, v6, s[8:11], 0 offen offset:128   // 00000000FCD4: E0701080 80026B06
	s_mov_b64 exec, s[36:37]                                   // 00000000FCDC: BEFE0124
	v_mov_b32_e32 v6, v76                                      // 00000000FCE0: 7E0C034C
	s_mov_b64 s[60:61], 0                                      // 00000000FCE4: BEBC0180
	v_readlane_b32 s82, v3, 28                                 // 00000000FCE8: D2890052 00013903
	s_and_b32 s82, s82, 0xffffff                               // 00000000FCF0: 8652FF52 00FFFFFF
	s_cmp_lt_u32 s82, s66                                      // 00000000FCF8: BF0A4252
	s_cselect_b32 s20, s36, s60                                // 00000000FCFC: 85143C24
	v_readlane_b32 s82, v3, 29                                 // 00000000FD00: D2890052 00013B03
	s_and_b32 s82, s82, 0xffffff                               // 00000000FD08: 8652FF52 00FFFFFF
	s_cmp_lt_u32 s82, s66                                      // 00000000FD10: BF0A4252
	s_cselect_b32 s21, s36, s60                                // 00000000FD14: 85153C24
	s_mov_b64 exec, s[20:21]                                   // 00000000FD18: BEFE0114
	buffer_store_dword v108, v6, s[8:11], 0 offen              // 00000000FD1C: E0701000 80026C06
	buffer_store_dword v110, v6, s[8:11], 0 offen offset:128   // 00000000FD24: E0701080 80026E06
	s_mov_b64 exec, s[36:37]                                   // 00000000FD2C: BEFE0124
	v_mov_b32_e32 v6, v77                                      // 00000000FD30: 7E0C034D
	s_mov_b64 s[60:61], 0                                      // 00000000FD34: BEBC0180
	v_readlane_b32 s82, v3, 30                                 // 00000000FD38: D2890052 00013D03
	s_and_b32 s82, s82, 0xffffff                               // 00000000FD40: 8652FF52 00FFFFFF
	s_cmp_lt_u32 s82, s66                                      // 00000000FD48: BF0A4252
	s_cselect_b32 s20, s36, s60                                // 00000000FD4C: 85143C24
	v_readlane_b32 s82, v3, 31                                 // 00000000FD50: D2890052 00013F03
	s_and_b32 s82, s82, 0xffffff                               // 00000000FD58: 8652FF52 00FFFFFF
	s_cmp_lt_u32 s82, s66                                      // 00000000FD60: BF0A4252
	s_cselect_b32 s21, s36, s60                                // 00000000FD64: 85153C24
	s_mov_b64 exec, s[20:21]                                   // 00000000FD68: BEFE0114
	buffer_store_dword v109, v6, s[8:11], 0 offen              // 00000000FD6C: E0701000 80026D06
	buffer_store_dword v111, v6, s[8:11], 0 offen offset:128   // 00000000FD74: E0701080 80026F06
	s_mov_b64 exec, s[36:37]                                   // 00000000FD7C: BEFE0124
	s_branch label_3CEE                                        // 00000000FD80: BF82080A

000000000000fd84 <label_34E4>:
	ds_write_b64 v20, v[80:81]                                 // 00000000FD84: D89A0000 00005014
	ds_write_b64 v20, v[84:85] offset:4352                     // 00000000FD8C: D89A1100 00005414
	ds_write_b64 v20, v[88:89] offset:8704                     // 00000000FD94: D89A2200 00005814
	ds_write_b64 v20, v[92:93] offset:13056                    // 00000000FD9C: D89A3300 00005C14
	ds_write_b64 v20, v[96:97] offset:17408                    // 00000000FDA4: D89A4400 00006014
	ds_write_b64 v20, v[100:101] offset:21760                  // 00000000FDAC: D89A5500 00006414
	ds_write_b64 v20, v[104:105] offset:26112                  // 00000000FDB4: D89A6600 00006814
	ds_write_b64 v20, v[108:109] offset:30464                  // 00000000FDBC: D89A7700 00006C14
	ds_write_b64 v20, v[112:113] offset:2176                   // 00000000FDC4: D89A0880 00007014
	ds_write_b64 v20, v[116:117] offset:6528                   // 00000000FDCC: D89A1980 00007414
	ds_write_b64 v20, v[120:121] offset:10880                  // 00000000FDD4: D89A2A80 00007814
	ds_write_b64 v20, v[124:125] offset:15232                  // 00000000FDDC: D89A3B80 00007C14
	ds_write_b64 v20, v[128:129] offset:19584                  // 00000000FDE4: D89A4C80 00008014
	ds_write_b64 v20, v[132:133] offset:23936                  // 00000000FDEC: D89A5D80 00008414
	ds_write_b64 v20, v[136:137] offset:28288                  // 00000000FDF4: D89A6E80 00008814
	ds_write_b64 v20, v[140:141] offset:32640                  // 00000000FDFC: D89A7F80 00008C14
	v_lshrrev_b32_e32 v4, 5, v0                                // 00000000FE04: 20080085
	v_xor_b32_e32 v5, 1, v4                                    // 00000000FE08: 2A0A0881
	s_mul_i32 s60, s65, 2                                      // 00000000FE0C: 923C8241
	s_cmp_eq_u32 s88, 0                                        // 00000000FE10: BF068058
	s_cselect_b32 s61, 1, 4                                    // 00000000FE14: 853D8481
	s_mul_i32 s60, s61, s60                                    // 00000000FE18: 923C3C3D
	v_readlane_b32 s82, v3, 0                                  // 00000000FE1C: D2890052 00010103
	s_lshr_b32 s61, s82, 24                                    // 00000000FE24: 8F3D9852
	s_and_b32 s82, s82, 0xffffff                               // 00000000FE28: 8652FF52 00FFFFFF
	s_mul_i32 s82, s82, s71                                    // 00000000FE30: 92524752
	s_mul_i32 s61, s60, s61                                    // 00000000FE34: 923D3D3C
	s_add_u32 s82, s82, s61                                    // 00000000FE38: 80523D52
	v_mul_lo_u32 v6, v5, s82                                   // 00000000FE3C: D2850006 0000A505
	v_readlane_b32 s82, v3, 1                                  // 00000000FE44: D2890052 00010303
	s_lshr_b32 s61, s82, 24                                    // 00000000FE4C: 8F3D9852
	s_and_b32 s82, s82, 0xffffff                               // 00000000FE50: 8652FF52 00FFFFFF
	s_mul_i32 s82, s82, s71                                    // 00000000FE58: 92524752
	s_mul_i32 s61, s60, s61                                    // 00000000FE5C: 923D3D3C
	s_add_u32 s82, s82, s61                                    // 00000000FE60: 80523D52
	v_mul_lo_u32 v7, v4, s82                                   // 00000000FE64: D2850007 0000A504
	v_add_u32_e32 v62, v6, v7                                  // 00000000FE6C: 687C0F06
	v_readlane_b32 s82, v3, 2                                  // 00000000FE70: D2890052 00010503
	s_lshr_b32 s61, s82, 24                                    // 00000000FE78: 8F3D9852
	s_and_b32 s82, s82, 0xffffff                               // 00000000FE7C: 8652FF52 00FFFFFF
	s_mul_i32 s82, s82, s71                                    // 00000000FE84: 92524752
	s_mul_i32 s61, s60, s61                                    // 00000000FE88: 923D3D3C
	s_add_u32 s82, s82, s61                                    // 00000000FE8C: 80523D52
	v_mul_lo_u32 v6, v5, s82                                   // 00000000FE90: D2850006 0000A505
	v_readlane_b32 s82, v3, 3                                  // 00000000FE98: D2890052 00010703
	s_lshr_b32 s61, s82, 24                                    // 00000000FEA0: 8F3D9852
	s_and_b32 s82, s82, 0xffffff                               // 00000000FEA4: 8652FF52 00FFFFFF
	s_mul_i32 s82, s82, s71                                    // 00000000FEAC: 92524752
	s_mul_i32 s61, s60, s61                                    // 00000000FEB0: 923D3D3C
	s_add_u32 s82, s82, s61                                    // 00000000FEB4: 80523D52
	v_mul_lo_u32 v7, v4, s82                                   // 00000000FEB8: D2850007 0000A504
	v_add_u32_e32 v63, v6, v7                                  // 00000000FEC0: 687E0F06
	v_readlane_b32 s82, v3, 4                                  // 00000000FEC4: D2890052 00010903
	s_lshr_b32 s61, s82, 24                                    // 00000000FECC: 8F3D9852
	s_and_b32 s82, s82, 0xffffff                               // 00000000FED0: 8652FF52 00FFFFFF
	s_mul_i32 s82, s82, s71                                    // 00000000FED8: 92524752
	s_mul_i32 s61, s60, s61                                    // 00000000FEDC: 923D3D3C
	s_add_u32 s82, s82, s61                                    // 00000000FEE0: 80523D52
	v_mul_lo_u32 v6, v5, s82                                   // 00000000FEE4: D2850006 0000A505
	v_readlane_b32 s82, v3, 5                                  // 00000000FEEC: D2890052 00010B03
	s_lshr_b32 s61, s82, 24                                    // 00000000FEF4: 8F3D9852
	s_and_b32 s82, s82, 0xffffff                               // 00000000FEF8: 8652FF52 00FFFFFF
	s_mul_i32 s82, s82, s71                                    // 00000000FF00: 92524752
	s_mul_i32 s61, s60, s61                                    // 00000000FF04: 923D3D3C
	s_add_u32 s82, s82, s61                                    // 00000000FF08: 80523D52
	v_mul_lo_u32 v7, v4, s82                                   // 00000000FF0C: D2850007 0000A504
	v_add_u32_e32 v64, v6, v7                                  // 00000000FF14: 68800F06
	v_readlane_b32 s82, v3, 6                                  // 00000000FF18: D2890052 00010D03
	s_lshr_b32 s61, s82, 24                                    // 00000000FF20: 8F3D9852
	s_and_b32 s82, s82, 0xffffff                               // 00000000FF24: 8652FF52 00FFFFFF
	s_mul_i32 s82, s82, s71                                    // 00000000FF2C: 92524752
	s_mul_i32 s61, s60, s61                                    // 00000000FF30: 923D3D3C
	s_add_u32 s82, s82, s61                                    // 00000000FF34: 80523D52
	v_mul_lo_u32 v6, v5, s82                                   // 00000000FF38: D2850006 0000A505
	v_readlane_b32 s82, v3, 7                                  // 00000000FF40: D2890052 00010F03
	s_lshr_b32 s61, s82, 24                                    // 00000000FF48: 8F3D9852
	s_and_b32 s82, s82, 0xffffff                               // 00000000FF4C: 8652FF52 00FFFFFF
	s_mul_i32 s82, s82, s71                                    // 00000000FF54: 92524752
	s_mul_i32 s61, s60, s61                                    // 00000000FF58: 923D3D3C
	s_add_u32 s82, s82, s61                                    // 00000000FF5C: 80523D52
	v_mul_lo_u32 v7, v4, s82                                   // 00000000FF60: D2850007 0000A504
	v_add_u32_e32 v65, v6, v7                                  // 00000000FF68: 68820F06
	v_readlane_b32 s82, v3, 8                                  // 00000000FF6C: D2890052 00011103
	s_lshr_b32 s61, s82, 24                                    // 00000000FF74: 8F3D9852
	s_and_b32 s82, s82, 0xffffff                               // 00000000FF78: 8652FF52 00FFFFFF
	s_mul_i32 s82, s82, s71                                    // 00000000FF80: 92524752
	s_mul_i32 s61, s60, s61                                    // 00000000FF84: 923D3D3C
	s_add_u32 s82, s82, s61                                    // 00000000FF88: 80523D52
	v_mul_lo_u32 v6, v5, s82                                   // 00000000FF8C: D2850006 0000A505
	v_readlane_b32 s82, v3, 9                                  // 00000000FF94: D2890052 00011303
	s_lshr_b32 s61, s82, 24                                    // 00000000FF9C: 8F3D9852
	s_and_b32 s82, s82, 0xffffff                               // 00000000FFA0: 8652FF52 00FFFFFF
	s_mul_i32 s82, s82, s71                                    // 00000000FFA8: 92524752
	s_mul_i32 s61, s60, s61                                    // 00000000FFAC: 923D3D3C
	s_add_u32 s82, s82, s61                                    // 00000000FFB0: 80523D52
	v_mul_lo_u32 v7, v4, s82                                   // 00000000FFB4: D2850007 0000A504
	v_add_u32_e32 v66, v6, v7                                  // 00000000FFBC: 68840F06
	v_readlane_b32 s82, v3, 10                                 // 00000000FFC0: D2890052 00011503
	s_lshr_b32 s61, s82, 24                                    // 00000000FFC8: 8F3D9852
	s_and_b32 s82, s82, 0xffffff                               // 00000000FFCC: 8652FF52 00FFFFFF
	s_mul_i32 s82, s82, s71                                    // 00000000FFD4: 92524752
	s_mul_i32 s61, s60, s61                                    // 00000000FFD8: 923D3D3C
	s_add_u32 s82, s82, s61                                    // 00000000FFDC: 80523D52
	v_mul_lo_u32 v6, v5, s82                                   // 00000000FFE0: D2850006 0000A505
	v_readlane_b32 s82, v3, 11                                 // 00000000FFE8: D2890052 00011703
	s_lshr_b32 s61, s82, 24                                    // 00000000FFF0: 8F3D9852
	s_and_b32 s82, s82, 0xffffff                               // 00000000FFF4: 8652FF52 00FFFFFF
	s_mul_i32 s82, s82, s71                                    // 00000000FFFC: 92524752
	s_mul_i32 s61, s60, s61                                    // 000000010000: 923D3D3C
	s_add_u32 s82, s82, s61                                    // 000000010004: 80523D52
	v_mul_lo_u32 v7, v4, s82                                   // 000000010008: D2850007 0000A504
	v_add_u32_e32 v67, v6, v7                                  // 000000010010: 68860F06
	v_readlane_b32 s82, v3, 12                                 // 000000010014: D2890052 00011903
	s_lshr_b32 s61, s82, 24                                    // 00000001001C: 8F3D9852
	s_and_b32 s82, s82, 0xffffff                               // 000000010020: 8652FF52 00FFFFFF
	s_mul_i32 s82, s82, s71                                    // 000000010028: 92524752
	s_mul_i32 s61, s60, s61                                    // 00000001002C: 923D3D3C
	s_add_u32 s82, s82, s61                                    // 000000010030: 80523D52
	v_mul_lo_u32 v6, v5, s82                                   // 000000010034: D2850006 0000A505
	v_readlane_b32 s82, v3, 13                                 // 00000001003C: D2890052 00011B03
	s_lshr_b32 s61, s82, 24                                    // 000000010044: 8F3D9852
	s_and_b32 s82, s82, 0xffffff                               // 000000010048: 8652FF52 00FFFFFF
	s_mul_i32 s82, s82, s71                                    // 000000010050: 92524752
	s_mul_i32 s61, s60, s61                                    // 000000010054: 923D3D3C
	s_add_u32 s82, s82, s61                                    // 000000010058: 80523D52
	v_mul_lo_u32 v7, v4, s82                                   // 00000001005C: D2850007 0000A504
	v_add_u32_e32 v68, v6, v7                                  // 000000010064: 68880F06
	v_readlane_b32 s82, v3, 14                                 // 000000010068: D2890052 00011D03
	s_lshr_b32 s61, s82, 24                                    // 000000010070: 8F3D9852
	s_and_b32 s82, s82, 0xffffff                               // 000000010074: 8652FF52 00FFFFFF
	s_mul_i32 s82, s82, s71                                    // 00000001007C: 92524752
	s_mul_i32 s61, s60, s61                                    // 000000010080: 923D3D3C
	s_add_u32 s82, s82, s61                                    // 000000010084: 80523D52
	v_mul_lo_u32 v6, v5, s82                                   // 000000010088: D2850006 0000A505
	v_readlane_b32 s82, v3, 15                                 // 000000010090: D2890052 00011F03
	s_lshr_b32 s61, s82, 24                                    // 000000010098: 8F3D9852
	s_and_b32 s82, s82, 0xffffff                               // 00000001009C: 8652FF52 00FFFFFF
	s_mul_i32 s82, s82, s71                                    // 0000000100A4: 92524752
	s_mul_i32 s61, s60, s61                                    // 0000000100A8: 923D3D3C
	s_add_u32 s82, s82, s61                                    // 0000000100AC: 80523D52
	v_mul_lo_u32 v7, v4, s82                                   // 0000000100B0: D2850007 0000A504
	v_add_u32_e32 v69, v6, v7                                  // 0000000100B8: 688A0F06
	v_readlane_b32 s82, v3, 16                                 // 0000000100BC: D2890052 00012103
	s_lshr_b32 s61, s82, 24                                    // 0000000100C4: 8F3D9852
	s_and_b32 s82, s82, 0xffffff                               // 0000000100C8: 8652FF52 00FFFFFF
	s_mul_i32 s82, s82, s71                                    // 0000000100D0: 92524752
	s_mul_i32 s61, s60, s61                                    // 0000000100D4: 923D3D3C
	s_add_u32 s82, s82, s61                                    // 0000000100D8: 80523D52
	v_mul_lo_u32 v6, v5, s82                                   // 0000000100DC: D2850006 0000A505
	v_readlane_b32 s82, v3, 17                                 // 0000000100E4: D2890052 00012303
	s_lshr_b32 s61, s82, 24                                    // 0000000100EC: 8F3D9852
	s_and_b32 s82, s82, 0xffffff                               // 0000000100F0: 8652FF52 00FFFFFF
	s_mul_i32 s82, s82, s71                                    // 0000000100F8: 92524752
	s_mul_i32 s61, s60, s61                                    // 0000000100FC: 923D3D3C
	s_add_u32 s82, s82, s61                                    // 000000010100: 80523D52
	v_mul_lo_u32 v7, v4, s82                                   // 000000010104: D2850007 0000A504
	v_add_u32_e32 v70, v6, v7                                  // 00000001010C: 688C0F06
	v_readlane_b32 s82, v3, 18                                 // 000000010110: D2890052 00012503
	s_lshr_b32 s61, s82, 24                                    // 000000010118: 8F3D9852
	s_and_b32 s82, s82, 0xffffff                               // 00000001011C: 8652FF52 00FFFFFF
	s_mul_i32 s82, s82, s71                                    // 000000010124: 92524752
	s_mul_i32 s61, s60, s61                                    // 000000010128: 923D3D3C
	s_add_u32 s82, s82, s61                                    // 00000001012C: 80523D52
	v_mul_lo_u32 v6, v5, s82                                   // 000000010130: D2850006 0000A505
	v_readlane_b32 s82, v3, 19                                 // 000000010138: D2890052 00012703
	s_lshr_b32 s61, s82, 24                                    // 000000010140: 8F3D9852
	s_and_b32 s82, s82, 0xffffff                               // 000000010144: 8652FF52 00FFFFFF
	s_mul_i32 s82, s82, s71                                    // 00000001014C: 92524752
	s_mul_i32 s61, s60, s61                                    // 000000010150: 923D3D3C
	s_add_u32 s82, s82, s61                                    // 000000010154: 80523D52
	v_mul_lo_u32 v7, v4, s82                                   // 000000010158: D2850007 0000A504
	v_add_u32_e32 v71, v6, v7                                  // 000000010160: 688E0F06
	v_readlane_b32 s82, v3, 20                                 // 000000010164: D2890052 00012903
	s_lshr_b32 s61, s82, 24                                    // 00000001016C: 8F3D9852
	s_and_b32 s82, s82, 0xffffff                               // 000000010170: 8652FF52 00FFFFFF
	s_mul_i32 s82, s82, s71                                    // 000000010178: 92524752
	s_mul_i32 s61, s60, s61                                    // 00000001017C: 923D3D3C
	s_add_u32 s82, s82, s61                                    // 000000010180: 80523D52
	v_mul_lo_u32 v6, v5, s82                                   // 000000010184: D2850006 0000A505
	v_readlane_b32 s82, v3, 21                                 // 00000001018C: D2890052 00012B03
	s_lshr_b32 s61, s82, 24                                    // 000000010194: 8F3D9852
	s_and_b32 s82, s82, 0xffffff                               // 000000010198: 8652FF52 00FFFFFF
	s_mul_i32 s82, s82, s71                                    // 0000000101A0: 92524752
	s_mul_i32 s61, s60, s61                                    // 0000000101A4: 923D3D3C
	s_add_u32 s82, s82, s61                                    // 0000000101A8: 80523D52
	v_mul_lo_u32 v7, v4, s82                                   // 0000000101AC: D2850007 0000A504
	v_add_u32_e32 v72, v6, v7                                  // 0000000101B4: 68900F06
	v_readlane_b32 s82, v3, 22                                 // 0000000101B8: D2890052 00012D03
	s_lshr_b32 s61, s82, 24                                    // 0000000101C0: 8F3D9852
	s_and_b32 s82, s82, 0xffffff                               // 0000000101C4: 8652FF52 00FFFFFF
	s_mul_i32 s82, s82, s71                                    // 0000000101CC: 92524752
	s_mul_i32 s61, s60, s61                                    // 0000000101D0: 923D3D3C
	s_add_u32 s82, s82, s61                                    // 0000000101D4: 80523D52
	v_mul_lo_u32 v6, v5, s82                                   // 0000000101D8: D2850006 0000A505
	v_readlane_b32 s82, v3, 23                                 // 0000000101E0: D2890052 00012F03
	s_lshr_b32 s61, s82, 24                                    // 0000000101E8: 8F3D9852
	s_and_b32 s82, s82, 0xffffff                               // 0000000101EC: 8652FF52 00FFFFFF
	s_mul_i32 s82, s82, s71                                    // 0000000101F4: 92524752
	s_mul_i32 s61, s60, s61                                    // 0000000101F8: 923D3D3C
	s_add_u32 s82, s82, s61                                    // 0000000101FC: 80523D52
	v_mul_lo_u32 v7, v4, s82                                   // 000000010200: D2850007 0000A504
	v_add_u32_e32 v73, v6, v7                                  // 000000010208: 68920F06
	v_readlane_b32 s82, v3, 24                                 // 00000001020C: D2890052 00013103
	s_lshr_b32 s61, s82, 24                                    // 000000010214: 8F3D9852
	s_and_b32 s82, s82, 0xffffff                               // 000000010218: 8652FF52 00FFFFFF
	s_mul_i32 s82, s82, s71                                    // 000000010220: 92524752
	s_mul_i32 s61, s60, s61                                    // 000000010224: 923D3D3C
	s_add_u32 s82, s82, s61                                    // 000000010228: 80523D52
	v_mul_lo_u32 v6, v5, s82                                   // 00000001022C: D2850006 0000A505
	v_readlane_b32 s82, v3, 25                                 // 000000010234: D2890052 00013303
	s_lshr_b32 s61, s82, 24                                    // 00000001023C: 8F3D9852
	s_and_b32 s82, s82, 0xffffff                               // 000000010240: 8652FF52 00FFFFFF
	s_mul_i32 s82, s82, s71                                    // 000000010248: 92524752
	s_mul_i32 s61, s60, s61                                    // 00000001024C: 923D3D3C
	s_add_u32 s82, s82, s61                                    // 000000010250: 80523D52
	v_mul_lo_u32 v7, v4, s82                                   // 000000010254: D2850007 0000A504
	v_add_u32_e32 v74, v6, v7                                  // 00000001025C: 68940F06
	v_readlane_b32 s82, v3, 26                                 // 000000010260: D2890052 00013503
	s_lshr_b32 s61, s82, 24                                    // 000000010268: 8F3D9852
	s_and_b32 s82, s82, 0xffffff                               // 00000001026C: 8652FF52 00FFFFFF
	s_mul_i32 s82, s82, s71                                    // 000000010274: 92524752
	s_mul_i32 s61, s60, s61                                    // 000000010278: 923D3D3C
	s_add_u32 s82, s82, s61                                    // 00000001027C: 80523D52
	v_mul_lo_u32 v6, v5, s82                                   // 000000010280: D2850006 0000A505
	v_readlane_b32 s82, v3, 27                                 // 000000010288: D2890052 00013703
	s_lshr_b32 s61, s82, 24                                    // 000000010290: 8F3D9852
	s_and_b32 s82, s82, 0xffffff                               // 000000010294: 8652FF52 00FFFFFF
	s_mul_i32 s82, s82, s71                                    // 00000001029C: 92524752
	s_mul_i32 s61, s60, s61                                    // 0000000102A0: 923D3D3C
	s_add_u32 s82, s82, s61                                    // 0000000102A4: 80523D52
	v_mul_lo_u32 v7, v4, s82                                   // 0000000102A8: D2850007 0000A504
	v_add_u32_e32 v75, v6, v7                                  // 0000000102B0: 68960F06
	v_readlane_b32 s82, v3, 28                                 // 0000000102B4: D2890052 00013903
	s_lshr_b32 s61, s82, 24                                    // 0000000102BC: 8F3D9852
	s_and_b32 s82, s82, 0xffffff                               // 0000000102C0: 8652FF52 00FFFFFF
	s_mul_i32 s82, s82, s71                                    // 0000000102C8: 92524752
	s_mul_i32 s61, s60, s61                                    // 0000000102CC: 923D3D3C
	s_add_u32 s82, s82, s61                                    // 0000000102D0: 80523D52
	v_mul_lo_u32 v6, v5, s82                                   // 0000000102D4: D2850006 0000A505
	v_readlane_b32 s82, v3, 29                                 // 0000000102DC: D2890052 00013B03
	s_lshr_b32 s61, s82, 24                                    // 0000000102E4: 8F3D9852
	s_and_b32 s82, s82, 0xffffff                               // 0000000102E8: 8652FF52 00FFFFFF
	s_mul_i32 s82, s82, s71                                    // 0000000102F0: 92524752
	s_mul_i32 s61, s60, s61                                    // 0000000102F4: 923D3D3C
	s_add_u32 s82, s82, s61                                    // 0000000102F8: 80523D52
	v_mul_lo_u32 v7, v4, s82                                   // 0000000102FC: D2850007 0000A504
	v_add_u32_e32 v76, v6, v7                                  // 000000010304: 68980F06
	v_readlane_b32 s82, v3, 30                                 // 000000010308: D2890052 00013D03
	s_lshr_b32 s61, s82, 24                                    // 000000010310: 8F3D9852
	s_and_b32 s82, s82, 0xffffff                               // 000000010314: 8652FF52 00FFFFFF
	s_mul_i32 s82, s82, s71                                    // 00000001031C: 92524752
	s_mul_i32 s61, s60, s61                                    // 000000010320: 923D3D3C
	s_add_u32 s82, s82, s61                                    // 000000010324: 80523D52
	v_mul_lo_u32 v6, v5, s82                                   // 000000010328: D2850006 0000A505
	v_readlane_b32 s82, v3, 31                                 // 000000010330: D2890052 00013F03
	s_lshr_b32 s61, s82, 24                                    // 000000010338: 8F3D9852
	s_and_b32 s82, s82, 0xffffff                               // 00000001033C: 8652FF52 00FFFFFF
	s_mul_i32 s82, s82, s71                                    // 000000010344: 92524752
	s_mul_i32 s61, s60, s61                                    // 000000010348: 923D3D3C
	s_add_u32 s82, s82, s61                                    // 00000001034C: 80523D52
	v_mul_lo_u32 v7, v4, s82                                   // 000000010350: D2850007 0000A504
	v_add_u32_e32 v77, v6, v7                                  // 000000010358: 689A0F06
	v_and_b32_e32 v4, 31, v0                                   // 00000001035C: 2608009F
	v_lshrrev_b32_e32 v4, 1, v4                                // 000000010360: 20080881
	s_cmp_eq_u32 s88, 0                                        // 000000010364: BF068058
	s_cselect_b32 s61, 2, 4                                    // 000000010368: 853D8482
	v_mul_lo_u32 v4, v4, s61                                   // 00000001036C: D2850004 00007B04
	v_and_b32_e64 v5, v0, 1                                    // 000000010374: D1130005 00010300
	v_add_u32_e32 v4, v4, v5                                   // 00000001037C: 68080B04
	v_lshlrev_b32_e32 v4, 2, v4                                // 000000010380: 24080882
	v_add_u32_e32 v62, v62, v4                                 // 000000010384: 687C093E
	v_add_u32_e32 v63, v63, v4                                 // 000000010388: 687E093F
	v_add_u32_e32 v64, v64, v4                                 // 00000001038C: 68800940
	v_add_u32_e32 v65, v65, v4                                 // 000000010390: 68820941
	v_add_u32_e32 v66, v66, v4                                 // 000000010394: 68840942
	;; [unrolled: 1-line block ×3, first 2 shown]
	v_add_u32_e32 v68, v68, v4                                 // 00000001039C: 68880944
	v_add_u32_e32 v69, v69, v4                                 // 0000000103A0: 688A0945
	v_add_u32_e32 v70, v70, v4                                 // 0000000103A4: 688C0946
	v_add_u32_e32 v71, v71, v4                                 // 0000000103A8: 688E0947
	v_add_u32_e32 v72, v72, v4                                 // 0000000103AC: 68900948
	v_add_u32_e32 v73, v73, v4                                 // 0000000103B0: 68920949
	v_add_u32_e32 v74, v74, v4                                 // 0000000103B4: 6894094A
	v_add_u32_e32 v75, v75, v4                                 // 0000000103B8: 6896094B
	v_add_u32_e32 v76, v76, v4                                 // 0000000103BC: 6898094C
	v_add_u32_e32 v77, v77, v4                                 // 0000000103C0: 689A094D
	s_waitcnt lgkmcnt(0)                                       // 0000000103C4: BF8CC07F
	s_barrier                                                  // 0000000103C8: BF8A0000
	ds_read_b32 v80, v21                                       // 0000000103CC: D86C0000 50000015
	ds_read_b32 v81, v21 offset:64                             // 0000000103D4: D86C0040 51000015
	ds_read_b32 v84, v21 offset:2176                           // 0000000103DC: D86C0880 54000015
	ds_read_b32 v85, v21 offset:2240                           // 0000000103E4: D86C08C0 55000015
	ds_read_b32 v88, v21 offset:4352                           // 0000000103EC: D86C1100 58000015
	ds_read_b32 v89, v21 offset:4416                           // 0000000103F4: D86C1140 59000015
	ds_read_b32 v92, v21 offset:6528                           // 0000000103FC: D86C1980 5C000015
	ds_read_b32 v93, v21 offset:6592                           // 000000010404: D86C19C0 5D000015
	ds_read_b32 v96, v21 offset:8704                           // 00000001040C: D86C2200 60000015
	ds_read_b32 v97, v21 offset:8768                           // 000000010414: D86C2240 61000015
	ds_read_b32 v100, v21 offset:10880                         // 00000001041C: D86C2A80 64000015
	ds_read_b32 v101, v21 offset:10944                         // 000000010424: D86C2AC0 65000015
	ds_read_b32 v104, v21 offset:13056                         // 00000001042C: D86C3300 68000015
	ds_read_b32 v105, v21 offset:13120                         // 000000010434: D86C3340 69000015
	ds_read_b32 v108, v21 offset:15232                         // 00000001043C: D86C3B80 6C000015
	ds_read_b32 v109, v21 offset:15296                         // 000000010444: D86C3BC0 6D000015
	ds_read_b32 v112, v21 offset:17408                         // 00000001044C: D86C4400 70000015
	ds_read_b32 v113, v21 offset:17472                         // 000000010454: D86C4440 71000015
	ds_read_b32 v116, v21 offset:19584                         // 00000001045C: D86C4C80 74000015
	ds_read_b32 v117, v21 offset:19648                         // 000000010464: D86C4CC0 75000015
	ds_read_b32 v120, v21 offset:21760                         // 00000001046C: D86C5500 78000015
	ds_read_b32 v121, v21 offset:21824                         // 000000010474: D86C5540 79000015
	ds_read_b32 v124, v21 offset:23936                         // 00000001047C: D86C5D80 7C000015
	ds_read_b32 v125, v21 offset:24000                         // 000000010484: D86C5DC0 7D000015
	ds_read_b32 v128, v21 offset:26112                         // 00000001048C: D86C6600 80000015
	ds_read_b32 v129, v21 offset:26176                         // 000000010494: D86C6640 81000015
	ds_read_b32 v132, v21 offset:28288                         // 00000001049C: D86C6E80 84000015
	ds_read_b32 v133, v21 offset:28352                         // 0000000104A4: D86C6EC0 85000015
	ds_read_b32 v136, v21 offset:30464                         // 0000000104AC: D86C7700 88000015
	ds_read_b32 v137, v21 offset:30528                         // 0000000104B4: D86C7740 89000015
	ds_read_b32 v140, v21 offset:32640                         // 0000000104BC: D86C7F80 8C000015
	ds_read_b32 v141, v21 offset:32704                         // 0000000104C4: D86C7FC0 8D000015
	s_waitcnt lgkmcnt(0)                                       // 0000000104CC: BF8CC07F
	s_mov_b32 s36, -1                                          // 0000000104D0: BEA400C1
	s_mov_b32 s37, -1                                          // 0000000104D4: BEA500C1
	v_mov_b32_e32 v7, 0                                        // 0000000104D8: 7E0E0280
	s_mov_b64 exec, s[36:37]                                   // 0000000104DC: BEFE0124
	v_mov_b32_e32 v6, v62                                      // 0000000104E0: 7E0C033E
	s_mov_b64 s[60:61], 0                                      // 0000000104E4: BEBC0180
	v_readlane_b32 s82, v3, 0                                  // 0000000104E8: D2890052 00010103
	s_and_b32 s82, s82, 0xffffff                               // 0000000104F0: 8652FF52 00FFFFFF
	s_cmp_lt_u32 s82, s66                                      // 0000000104F8: BF0A4252
	s_cselect_b32 s20, s36, s60                                // 0000000104FC: 85143C24
	v_readlane_b32 s82, v3, 1                                  // 000000010500: D2890052 00010303
	s_and_b32 s82, s82, 0xffffff                               // 000000010508: 8652FF52 00FFFFFF
	s_cmp_lt_u32 s82, s66                                      // 000000010510: BF0A4252
	s_cselect_b32 s21, s36, s60                                // 000000010514: 85153C24
	s_mov_b64 exec, s[20:21]                                   // 000000010518: BEFE0114
	global_atomic_add_f32 v6, v80, s[8:9]                      // 00000001051C: DD348000 00085006
	global_atomic_add_f32 v6, v84, s[8:9] offset:256           // 000000010524: DD348100 00085406
	s_mov_b64 exec, s[36:37]                                   // 00000001052C: BEFE0124
	v_mov_b32_e32 v6, v63                                      // 000000010530: 7E0C033F
	s_mov_b64 s[60:61], 0                                      // 000000010534: BEBC0180
	v_readlane_b32 s82, v3, 2                                  // 000000010538: D2890052 00010503
	s_and_b32 s82, s82, 0xffffff                               // 000000010540: 8652FF52 00FFFFFF
	s_cmp_lt_u32 s82, s66                                      // 000000010548: BF0A4252
	s_cselect_b32 s20, s36, s60                                // 00000001054C: 85143C24
	v_readlane_b32 s82, v3, 3                                  // 000000010550: D2890052 00010703
	s_and_b32 s82, s82, 0xffffff                               // 000000010558: 8652FF52 00FFFFFF
	s_cmp_lt_u32 s82, s66                                      // 000000010560: BF0A4252
	s_cselect_b32 s21, s36, s60                                // 000000010564: 85153C24
	s_mov_b64 exec, s[20:21]                                   // 000000010568: BEFE0114
	global_atomic_add_f32 v6, v81, s[8:9]                      // 00000001056C: DD348000 00085106
	global_atomic_add_f32 v6, v85, s[8:9] offset:256           // 000000010574: DD348100 00085506
	s_mov_b64 exec, s[36:37]                                   // 00000001057C: BEFE0124
	v_mov_b32_e32 v6, v64                                      // 000000010580: 7E0C0340
	s_mov_b64 s[60:61], 0                                      // 000000010584: BEBC0180
	v_readlane_b32 s82, v3, 4                                  // 000000010588: D2890052 00010903
	s_and_b32 s82, s82, 0xffffff                               // 000000010590: 8652FF52 00FFFFFF
	s_cmp_lt_u32 s82, s66                                      // 000000010598: BF0A4252
	s_cselect_b32 s20, s36, s60                                // 00000001059C: 85143C24
	v_readlane_b32 s82, v3, 5                                  // 0000000105A0: D2890052 00010B03
	s_and_b32 s82, s82, 0xffffff                               // 0000000105A8: 8652FF52 00FFFFFF
	s_cmp_lt_u32 s82, s66                                      // 0000000105B0: BF0A4252
	s_cselect_b32 s21, s36, s60                                // 0000000105B4: 85153C24
	s_mov_b64 exec, s[20:21]                                   // 0000000105B8: BEFE0114
	global_atomic_add_f32 v6, v88, s[8:9]                      // 0000000105BC: DD348000 00085806
	global_atomic_add_f32 v6, v92, s[8:9] offset:256           // 0000000105C4: DD348100 00085C06
	s_mov_b64 exec, s[36:37]                                   // 0000000105CC: BEFE0124
	v_mov_b32_e32 v6, v65                                      // 0000000105D0: 7E0C0341
	s_mov_b64 s[60:61], 0                                      // 0000000105D4: BEBC0180
	v_readlane_b32 s82, v3, 6                                  // 0000000105D8: D2890052 00010D03
	s_and_b32 s82, s82, 0xffffff                               // 0000000105E0: 8652FF52 00FFFFFF
	s_cmp_lt_u32 s82, s66                                      // 0000000105E8: BF0A4252
	s_cselect_b32 s20, s36, s60                                // 0000000105EC: 85143C24
	v_readlane_b32 s82, v3, 7                                  // 0000000105F0: D2890052 00010F03
	s_and_b32 s82, s82, 0xffffff                               // 0000000105F8: 8652FF52 00FFFFFF
	s_cmp_lt_u32 s82, s66                                      // 000000010600: BF0A4252
	s_cselect_b32 s21, s36, s60                                // 000000010604: 85153C24
	s_mov_b64 exec, s[20:21]                                   // 000000010608: BEFE0114
	global_atomic_add_f32 v6, v89, s[8:9]                      // 00000001060C: DD348000 00085906
	global_atomic_add_f32 v6, v93, s[8:9] offset:256           // 000000010614: DD348100 00085D06
	s_mov_b64 exec, s[36:37]                                   // 00000001061C: BEFE0124
	v_mov_b32_e32 v6, v66                                      // 000000010620: 7E0C0342
	s_mov_b64 s[60:61], 0                                      // 000000010624: BEBC0180
	v_readlane_b32 s82, v3, 8                                  // 000000010628: D2890052 00011103
	s_and_b32 s82, s82, 0xffffff                               // 000000010630: 8652FF52 00FFFFFF
	s_cmp_lt_u32 s82, s66                                      // 000000010638: BF0A4252
	s_cselect_b32 s20, s36, s60                                // 00000001063C: 85143C24
	v_readlane_b32 s82, v3, 9                                  // 000000010640: D2890052 00011303
	s_and_b32 s82, s82, 0xffffff                               // 000000010648: 8652FF52 00FFFFFF
	s_cmp_lt_u32 s82, s66                                      // 000000010650: BF0A4252
	s_cselect_b32 s21, s36, s60                                // 000000010654: 85153C24
	s_mov_b64 exec, s[20:21]                                   // 000000010658: BEFE0114
	global_atomic_add_f32 v6, v96, s[8:9]                      // 00000001065C: DD348000 00086006
	global_atomic_add_f32 v6, v100, s[8:9] offset:256          // 000000010664: DD348100 00086406
	s_mov_b64 exec, s[36:37]                                   // 00000001066C: BEFE0124
	v_mov_b32_e32 v6, v67                                      // 000000010670: 7E0C0343
	s_mov_b64 s[60:61], 0                                      // 000000010674: BEBC0180
	v_readlane_b32 s82, v3, 10                                 // 000000010678: D2890052 00011503
	s_and_b32 s82, s82, 0xffffff                               // 000000010680: 8652FF52 00FFFFFF
	s_cmp_lt_u32 s82, s66                                      // 000000010688: BF0A4252
	s_cselect_b32 s20, s36, s60                                // 00000001068C: 85143C24
	v_readlane_b32 s82, v3, 11                                 // 000000010690: D2890052 00011703
	s_and_b32 s82, s82, 0xffffff                               // 000000010698: 8652FF52 00FFFFFF
	s_cmp_lt_u32 s82, s66                                      // 0000000106A0: BF0A4252
	s_cselect_b32 s21, s36, s60                                // 0000000106A4: 85153C24
	s_mov_b64 exec, s[20:21]                                   // 0000000106A8: BEFE0114
	global_atomic_add_f32 v6, v97, s[8:9]                      // 0000000106AC: DD348000 00086106
	global_atomic_add_f32 v6, v101, s[8:9] offset:256          // 0000000106B4: DD348100 00086506
	s_mov_b64 exec, s[36:37]                                   // 0000000106BC: BEFE0124
	v_mov_b32_e32 v6, v68                                      // 0000000106C0: 7E0C0344
	s_mov_b64 s[60:61], 0                                      // 0000000106C4: BEBC0180
	v_readlane_b32 s82, v3, 12                                 // 0000000106C8: D2890052 00011903
	s_and_b32 s82, s82, 0xffffff                               // 0000000106D0: 8652FF52 00FFFFFF
	s_cmp_lt_u32 s82, s66                                      // 0000000106D8: BF0A4252
	s_cselect_b32 s20, s36, s60                                // 0000000106DC: 85143C24
	v_readlane_b32 s82, v3, 13                                 // 0000000106E0: D2890052 00011B03
	s_and_b32 s82, s82, 0xffffff                               // 0000000106E8: 8652FF52 00FFFFFF
	s_cmp_lt_u32 s82, s66                                      // 0000000106F0: BF0A4252
	s_cselect_b32 s21, s36, s60                                // 0000000106F4: 85153C24
	s_mov_b64 exec, s[20:21]                                   // 0000000106F8: BEFE0114
	global_atomic_add_f32 v6, v104, s[8:9]                     // 0000000106FC: DD348000 00086806
	global_atomic_add_f32 v6, v108, s[8:9] offset:256          // 000000010704: DD348100 00086C06
	s_mov_b64 exec, s[36:37]                                   // 00000001070C: BEFE0124
	v_mov_b32_e32 v6, v69                                      // 000000010710: 7E0C0345
	s_mov_b64 s[60:61], 0                                      // 000000010714: BEBC0180
	v_readlane_b32 s82, v3, 14                                 // 000000010718: D2890052 00011D03
	s_and_b32 s82, s82, 0xffffff                               // 000000010720: 8652FF52 00FFFFFF
	s_cmp_lt_u32 s82, s66                                      // 000000010728: BF0A4252
	s_cselect_b32 s20, s36, s60                                // 00000001072C: 85143C24
	v_readlane_b32 s82, v3, 15                                 // 000000010730: D2890052 00011F03
	s_and_b32 s82, s82, 0xffffff                               // 000000010738: 8652FF52 00FFFFFF
	s_cmp_lt_u32 s82, s66                                      // 000000010740: BF0A4252
	s_cselect_b32 s21, s36, s60                                // 000000010744: 85153C24
	s_mov_b64 exec, s[20:21]                                   // 000000010748: BEFE0114
	global_atomic_add_f32 v6, v105, s[8:9]                     // 00000001074C: DD348000 00086906
	global_atomic_add_f32 v6, v109, s[8:9] offset:256          // 000000010754: DD348100 00086D06
	s_mov_b64 exec, s[36:37]                                   // 00000001075C: BEFE0124
	v_mov_b32_e32 v6, v70                                      // 000000010760: 7E0C0346
	s_mov_b64 s[60:61], 0                                      // 000000010764: BEBC0180
	v_readlane_b32 s82, v3, 16                                 // 000000010768: D2890052 00012103
	s_and_b32 s82, s82, 0xffffff                               // 000000010770: 8652FF52 00FFFFFF
	s_cmp_lt_u32 s82, s66                                      // 000000010778: BF0A4252
	s_cselect_b32 s20, s36, s60                                // 00000001077C: 85143C24
	v_readlane_b32 s82, v3, 17                                 // 000000010780: D2890052 00012303
	s_and_b32 s82, s82, 0xffffff                               // 000000010788: 8652FF52 00FFFFFF
	s_cmp_lt_u32 s82, s66                                      // 000000010790: BF0A4252
	s_cselect_b32 s21, s36, s60                                // 000000010794: 85153C24
	s_mov_b64 exec, s[20:21]                                   // 000000010798: BEFE0114
	global_atomic_add_f32 v6, v112, s[8:9]                     // 00000001079C: DD348000 00087006
	global_atomic_add_f32 v6, v116, s[8:9] offset:256          // 0000000107A4: DD348100 00087406
	s_mov_b64 exec, s[36:37]                                   // 0000000107AC: BEFE0124
	v_mov_b32_e32 v6, v71                                      // 0000000107B0: 7E0C0347
	s_mov_b64 s[60:61], 0                                      // 0000000107B4: BEBC0180
	v_readlane_b32 s82, v3, 18                                 // 0000000107B8: D2890052 00012503
	s_and_b32 s82, s82, 0xffffff                               // 0000000107C0: 8652FF52 00FFFFFF
	s_cmp_lt_u32 s82, s66                                      // 0000000107C8: BF0A4252
	s_cselect_b32 s20, s36, s60                                // 0000000107CC: 85143C24
	v_readlane_b32 s82, v3, 19                                 // 0000000107D0: D2890052 00012703
	s_and_b32 s82, s82, 0xffffff                               // 0000000107D8: 8652FF52 00FFFFFF
	s_cmp_lt_u32 s82, s66                                      // 0000000107E0: BF0A4252
	s_cselect_b32 s21, s36, s60                                // 0000000107E4: 85153C24
	s_mov_b64 exec, s[20:21]                                   // 0000000107E8: BEFE0114
	global_atomic_add_f32 v6, v113, s[8:9]                     // 0000000107EC: DD348000 00087106
	global_atomic_add_f32 v6, v117, s[8:9] offset:256          // 0000000107F4: DD348100 00087506
	s_mov_b64 exec, s[36:37]                                   // 0000000107FC: BEFE0124
	v_mov_b32_e32 v6, v72                                      // 000000010800: 7E0C0348
	s_mov_b64 s[60:61], 0                                      // 000000010804: BEBC0180
	v_readlane_b32 s82, v3, 20                                 // 000000010808: D2890052 00012903
	s_and_b32 s82, s82, 0xffffff                               // 000000010810: 8652FF52 00FFFFFF
	s_cmp_lt_u32 s82, s66                                      // 000000010818: BF0A4252
	s_cselect_b32 s20, s36, s60                                // 00000001081C: 85143C24
	v_readlane_b32 s82, v3, 21                                 // 000000010820: D2890052 00012B03
	s_and_b32 s82, s82, 0xffffff                               // 000000010828: 8652FF52 00FFFFFF
	s_cmp_lt_u32 s82, s66                                      // 000000010830: BF0A4252
	s_cselect_b32 s21, s36, s60                                // 000000010834: 85153C24
	s_mov_b64 exec, s[20:21]                                   // 000000010838: BEFE0114
	global_atomic_add_f32 v6, v120, s[8:9]                     // 00000001083C: DD348000 00087806
	global_atomic_add_f32 v6, v124, s[8:9] offset:256          // 000000010844: DD348100 00087C06
	s_mov_b64 exec, s[36:37]                                   // 00000001084C: BEFE0124
	v_mov_b32_e32 v6, v73                                      // 000000010850: 7E0C0349
	s_mov_b64 s[60:61], 0                                      // 000000010854: BEBC0180
	v_readlane_b32 s82, v3, 22                                 // 000000010858: D2890052 00012D03
	s_and_b32 s82, s82, 0xffffff                               // 000000010860: 8652FF52 00FFFFFF
	s_cmp_lt_u32 s82, s66                                      // 000000010868: BF0A4252
	s_cselect_b32 s20, s36, s60                                // 00000001086C: 85143C24
	v_readlane_b32 s82, v3, 23                                 // 000000010870: D2890052 00012F03
	s_and_b32 s82, s82, 0xffffff                               // 000000010878: 8652FF52 00FFFFFF
	s_cmp_lt_u32 s82, s66                                      // 000000010880: BF0A4252
	s_cselect_b32 s21, s36, s60                                // 000000010884: 85153C24
	s_mov_b64 exec, s[20:21]                                   // 000000010888: BEFE0114
	global_atomic_add_f32 v6, v121, s[8:9]                     // 00000001088C: DD348000 00087906
	global_atomic_add_f32 v6, v125, s[8:9] offset:256          // 000000010894: DD348100 00087D06
	s_mov_b64 exec, s[36:37]                                   // 00000001089C: BEFE0124
	v_mov_b32_e32 v6, v74                                      // 0000000108A0: 7E0C034A
	s_mov_b64 s[60:61], 0                                      // 0000000108A4: BEBC0180
	v_readlane_b32 s82, v3, 24                                 // 0000000108A8: D2890052 00013103
	s_and_b32 s82, s82, 0xffffff                               // 0000000108B0: 8652FF52 00FFFFFF
	s_cmp_lt_u32 s82, s66                                      // 0000000108B8: BF0A4252
	s_cselect_b32 s20, s36, s60                                // 0000000108BC: 85143C24
	v_readlane_b32 s82, v3, 25                                 // 0000000108C0: D2890052 00013303
	s_and_b32 s82, s82, 0xffffff                               // 0000000108C8: 8652FF52 00FFFFFF
	s_cmp_lt_u32 s82, s66                                      // 0000000108D0: BF0A4252
	s_cselect_b32 s21, s36, s60                                // 0000000108D4: 85153C24
	s_mov_b64 exec, s[20:21]                                   // 0000000108D8: BEFE0114
	global_atomic_add_f32 v6, v128, s[8:9]                     // 0000000108DC: DD348000 00088006
	global_atomic_add_f32 v6, v132, s[8:9] offset:256          // 0000000108E4: DD348100 00088406
	s_mov_b64 exec, s[36:37]                                   // 0000000108EC: BEFE0124
	v_mov_b32_e32 v6, v75                                      // 0000000108F0: 7E0C034B
	s_mov_b64 s[60:61], 0                                      // 0000000108F4: BEBC0180
	v_readlane_b32 s82, v3, 26                                 // 0000000108F8: D2890052 00013503
	s_and_b32 s82, s82, 0xffffff                               // 000000010900: 8652FF52 00FFFFFF
	s_cmp_lt_u32 s82, s66                                      // 000000010908: BF0A4252
	s_cselect_b32 s20, s36, s60                                // 00000001090C: 85143C24
	v_readlane_b32 s82, v3, 27                                 // 000000010910: D2890052 00013703
	s_and_b32 s82, s82, 0xffffff                               // 000000010918: 8652FF52 00FFFFFF
	s_cmp_lt_u32 s82, s66                                      // 000000010920: BF0A4252
	s_cselect_b32 s21, s36, s60                                // 000000010924: 85153C24
	s_mov_b64 exec, s[20:21]                                   // 000000010928: BEFE0114
	global_atomic_add_f32 v6, v129, s[8:9]                     // 00000001092C: DD348000 00088106
	global_atomic_add_f32 v6, v133, s[8:9] offset:256          // 000000010934: DD348100 00088506
	s_mov_b64 exec, s[36:37]                                   // 00000001093C: BEFE0124
	v_mov_b32_e32 v6, v76                                      // 000000010940: 7E0C034C
	s_mov_b64 s[60:61], 0                                      // 000000010944: BEBC0180
	v_readlane_b32 s82, v3, 28                                 // 000000010948: D2890052 00013903
	s_and_b32 s82, s82, 0xffffff                               // 000000010950: 8652FF52 00FFFFFF
	s_cmp_lt_u32 s82, s66                                      // 000000010958: BF0A4252
	s_cselect_b32 s20, s36, s60                                // 00000001095C: 85143C24
	v_readlane_b32 s82, v3, 29                                 // 000000010960: D2890052 00013B03
	s_and_b32 s82, s82, 0xffffff                               // 000000010968: 8652FF52 00FFFFFF
	s_cmp_lt_u32 s82, s66                                      // 000000010970: BF0A4252
	s_cselect_b32 s21, s36, s60                                // 000000010974: 85153C24
	s_mov_b64 exec, s[20:21]                                   // 000000010978: BEFE0114
	global_atomic_add_f32 v6, v136, s[8:9]                     // 00000001097C: DD348000 00088806
	global_atomic_add_f32 v6, v140, s[8:9] offset:256          // 000000010984: DD348100 00088C06
	s_mov_b64 exec, s[36:37]                                   // 00000001098C: BEFE0124
	v_mov_b32_e32 v6, v77                                      // 000000010990: 7E0C034D
	s_mov_b64 s[60:61], 0                                      // 000000010994: BEBC0180
	v_readlane_b32 s82, v3, 30                                 // 000000010998: D2890052 00013D03
	s_and_b32 s82, s82, 0xffffff                               // 0000000109A0: 8652FF52 00FFFFFF
	s_cmp_lt_u32 s82, s66                                      // 0000000109A8: BF0A4252
	s_cselect_b32 s20, s36, s60                                // 0000000109AC: 85143C24
	v_readlane_b32 s82, v3, 31                                 // 0000000109B0: D2890052 00013F03
	s_and_b32 s82, s82, 0xffffff                               // 0000000109B8: 8652FF52 00FFFFFF
	s_cmp_lt_u32 s82, s66                                      // 0000000109C0: BF0A4252
	s_cselect_b32 s21, s36, s60                                // 0000000109C4: 85153C24
	s_mov_b64 exec, s[20:21]                                   // 0000000109C8: BEFE0114
	global_atomic_add_f32 v6, v137, s[8:9]                     // 0000000109CC: DD348000 00088906
	global_atomic_add_f32 v6, v141, s[8:9] offset:256          // 0000000109D4: DD348100 00088D06
	s_mov_b64 exec, s[36:37]                                   // 0000000109DC: BEFE0124
	ds_write_b64 v20, v[82:83]                                 // 0000000109E0: D89A0000 00005214
	ds_write_b64 v20, v[86:87] offset:4352                     // 0000000109E8: D89A1100 00005614
	ds_write_b64 v20, v[90:91] offset:8704                     // 0000000109F0: D89A2200 00005A14
	ds_write_b64 v20, v[94:95] offset:13056                    // 0000000109F8: D89A3300 00005E14
	ds_write_b64 v20, v[98:99] offset:17408                    // 000000010A00: D89A4400 00006214
	ds_write_b64 v20, v[102:103] offset:21760                  // 000000010A08: D89A5500 00006614
	ds_write_b64 v20, v[106:107] offset:26112                  // 000000010A10: D89A6600 00006A14
	ds_write_b64 v20, v[110:111] offset:30464                  // 000000010A18: D89A7700 00006E14
	ds_write_b64 v20, v[114:115] offset:2176                   // 000000010A20: D89A0880 00007214
	ds_write_b64 v20, v[118:119] offset:6528                   // 000000010A28: D89A1980 00007614
	ds_write_b64 v20, v[122:123] offset:10880                  // 000000010A30: D89A2A80 00007A14
	ds_write_b64 v20, v[126:127] offset:15232                  // 000000010A38: D89A3B80 00007E14
	ds_write_b64 v20, v[130:131] offset:19584                  // 000000010A40: D89A4C80 00008214
	ds_write_b64 v20, v[134:135] offset:23936                  // 000000010A48: D89A5D80 00008614
	ds_write_b64 v20, v[138:139] offset:28288                  // 000000010A50: D89A6E80 00008A14
	ds_write_b64 v20, v[142:143] offset:32640                  // 000000010A58: D89A7F80 00008E14
	s_waitcnt lgkmcnt(0)                                       // 000000010A60: BF8CC07F
	s_barrier                                                  // 000000010A64: BF8A0000
	ds_read_b32 v82, v21                                       // 000000010A68: D86C0000 52000015
	ds_read_b32 v83, v21 offset:64                             // 000000010A70: D86C0040 53000015
	ds_read_b32 v86, v21 offset:2176                           // 000000010A78: D86C0880 56000015
	ds_read_b32 v87, v21 offset:2240                           // 000000010A80: D86C08C0 57000015
	ds_read_b32 v90, v21 offset:4352                           // 000000010A88: D86C1100 5A000015
	ds_read_b32 v91, v21 offset:4416                           // 000000010A90: D86C1140 5B000015
	ds_read_b32 v94, v21 offset:6528                           // 000000010A98: D86C1980 5E000015
	ds_read_b32 v95, v21 offset:6592                           // 000000010AA0: D86C19C0 5F000015
	ds_read_b32 v98, v21 offset:8704                           // 000000010AA8: D86C2200 62000015
	ds_read_b32 v99, v21 offset:8768                           // 000000010AB0: D86C2240 63000015
	ds_read_b32 v102, v21 offset:10880                         // 000000010AB8: D86C2A80 66000015
	ds_read_b32 v103, v21 offset:10944                         // 000000010AC0: D86C2AC0 67000015
	ds_read_b32 v106, v21 offset:13056                         // 000000010AC8: D86C3300 6A000015
	ds_read_b32 v107, v21 offset:13120                         // 000000010AD0: D86C3340 6B000015
	ds_read_b32 v110, v21 offset:15232                         // 000000010AD8: D86C3B80 6E000015
	ds_read_b32 v111, v21 offset:15296                         // 000000010AE0: D86C3BC0 6F000015
	ds_read_b32 v114, v21 offset:17408                         // 000000010AE8: D86C4400 72000015
	ds_read_b32 v115, v21 offset:17472                         // 000000010AF0: D86C4440 73000015
	ds_read_b32 v118, v21 offset:19584                         // 000000010AF8: D86C4C80 76000015
	ds_read_b32 v119, v21 offset:19648                         // 000000010B00: D86C4CC0 77000015
	ds_read_b32 v122, v21 offset:21760                         // 000000010B08: D86C5500 7A000015
	ds_read_b32 v123, v21 offset:21824                         // 000000010B10: D86C5540 7B000015
	ds_read_b32 v126, v21 offset:23936                         // 000000010B18: D86C5D80 7E000015
	ds_read_b32 v127, v21 offset:24000                         // 000000010B20: D86C5DC0 7F000015
	ds_read_b32 v130, v21 offset:26112                         // 000000010B28: D86C6600 82000015
	ds_read_b32 v131, v21 offset:26176                         // 000000010B30: D86C6640 83000015
	ds_read_b32 v134, v21 offset:28288                         // 000000010B38: D86C6E80 86000015
	ds_read_b32 v135, v21 offset:28352                         // 000000010B40: D86C6EC0 87000015
	ds_read_b32 v138, v21 offset:30464                         // 000000010B48: D86C7700 8A000015
	ds_read_b32 v139, v21 offset:30528                         // 000000010B50: D86C7740 8B000015
	ds_read_b32 v142, v21 offset:32640                         // 000000010B58: D86C7F80 8E000015
	ds_read_b32 v143, v21 offset:32704                         // 000000010B60: D86C7FC0 8F000015
	s_waitcnt lgkmcnt(0)                                       // 000000010B68: BF8CC07F
	v_mov_b32_e32 v7, 0                                        // 000000010B6C: 7E0E0280
	s_mov_b64 exec, s[36:37]                                   // 000000010B70: BEFE0124
	v_mov_b32_e32 v6, v62                                      // 000000010B74: 7E0C033E
	s_mov_b64 s[60:61], 0                                      // 000000010B78: BEBC0180
	v_readlane_b32 s82, v3, 0                                  // 000000010B7C: D2890052 00010103
	s_and_b32 s82, s82, 0xffffff                               // 000000010B84: 8652FF52 00FFFFFF
	s_cmp_lt_u32 s82, s66                                      // 000000010B8C: BF0A4252
	s_cselect_b32 s20, s36, s60                                // 000000010B90: 85143C24
	v_readlane_b32 s82, v3, 1                                  // 000000010B94: D2890052 00010303
	s_and_b32 s82, s82, 0xffffff                               // 000000010B9C: 8652FF52 00FFFFFF
	s_cmp_lt_u32 s82, s66                                      // 000000010BA4: BF0A4252
	s_cselect_b32 s21, s36, s60                                // 000000010BA8: 85153C24
	s_mov_b64 exec, s[20:21]                                   // 000000010BAC: BEFE0114
	global_atomic_add_f32 v6, v82, s[8:9] offset:8             // 000000010BB0: DD348008 00085206
	global_atomic_add_f32 v6, v86, s[8:9] offset:264           // 000000010BB8: DD348108 00085606
	s_mov_b64 exec, s[36:37]                                   // 000000010BC0: BEFE0124
	v_mov_b32_e32 v6, v63                                      // 000000010BC4: 7E0C033F
	s_mov_b64 s[60:61], 0                                      // 000000010BC8: BEBC0180
	v_readlane_b32 s82, v3, 2                                  // 000000010BCC: D2890052 00010503
	s_and_b32 s82, s82, 0xffffff                               // 000000010BD4: 8652FF52 00FFFFFF
	s_cmp_lt_u32 s82, s66                                      // 000000010BDC: BF0A4252
	s_cselect_b32 s20, s36, s60                                // 000000010BE0: 85143C24
	v_readlane_b32 s82, v3, 3                                  // 000000010BE4: D2890052 00010703
	s_and_b32 s82, s82, 0xffffff                               // 000000010BEC: 8652FF52 00FFFFFF
	s_cmp_lt_u32 s82, s66                                      // 000000010BF4: BF0A4252
	s_cselect_b32 s21, s36, s60                                // 000000010BF8: 85153C24
	s_mov_b64 exec, s[20:21]                                   // 000000010BFC: BEFE0114
	global_atomic_add_f32 v6, v83, s[8:9] offset:8             // 000000010C00: DD348008 00085306
	global_atomic_add_f32 v6, v87, s[8:9] offset:264           // 000000010C08: DD348108 00085706
	s_mov_b64 exec, s[36:37]                                   // 000000010C10: BEFE0124
	v_mov_b32_e32 v6, v64                                      // 000000010C14: 7E0C0340
	s_mov_b64 s[60:61], 0                                      // 000000010C18: BEBC0180
	v_readlane_b32 s82, v3, 4                                  // 000000010C1C: D2890052 00010903
	s_and_b32 s82, s82, 0xffffff                               // 000000010C24: 8652FF52 00FFFFFF
	s_cmp_lt_u32 s82, s66                                      // 000000010C2C: BF0A4252
	s_cselect_b32 s20, s36, s60                                // 000000010C30: 85143C24
	v_readlane_b32 s82, v3, 5                                  // 000000010C34: D2890052 00010B03
	s_and_b32 s82, s82, 0xffffff                               // 000000010C3C: 8652FF52 00FFFFFF
	s_cmp_lt_u32 s82, s66                                      // 000000010C44: BF0A4252
	s_cselect_b32 s21, s36, s60                                // 000000010C48: 85153C24
	s_mov_b64 exec, s[20:21]                                   // 000000010C4C: BEFE0114
	global_atomic_add_f32 v6, v90, s[8:9] offset:8             // 000000010C50: DD348008 00085A06
	global_atomic_add_f32 v6, v94, s[8:9] offset:264           // 000000010C58: DD348108 00085E06
	s_mov_b64 exec, s[36:37]                                   // 000000010C60: BEFE0124
	v_mov_b32_e32 v6, v65                                      // 000000010C64: 7E0C0341
	s_mov_b64 s[60:61], 0                                      // 000000010C68: BEBC0180
	v_readlane_b32 s82, v3, 6                                  // 000000010C6C: D2890052 00010D03
	s_and_b32 s82, s82, 0xffffff                               // 000000010C74: 8652FF52 00FFFFFF
	s_cmp_lt_u32 s82, s66                                      // 000000010C7C: BF0A4252
	s_cselect_b32 s20, s36, s60                                // 000000010C80: 85143C24
	v_readlane_b32 s82, v3, 7                                  // 000000010C84: D2890052 00010F03
	s_and_b32 s82, s82, 0xffffff                               // 000000010C8C: 8652FF52 00FFFFFF
	s_cmp_lt_u32 s82, s66                                      // 000000010C94: BF0A4252
	s_cselect_b32 s21, s36, s60                                // 000000010C98: 85153C24
	s_mov_b64 exec, s[20:21]                                   // 000000010C9C: BEFE0114
	global_atomic_add_f32 v6, v91, s[8:9] offset:8             // 000000010CA0: DD348008 00085B06
	global_atomic_add_f32 v6, v95, s[8:9] offset:264           // 000000010CA8: DD348108 00085F06
	s_mov_b64 exec, s[36:37]                                   // 000000010CB0: BEFE0124
	v_mov_b32_e32 v6, v66                                      // 000000010CB4: 7E0C0342
	s_mov_b64 s[60:61], 0                                      // 000000010CB8: BEBC0180
	v_readlane_b32 s82, v3, 8                                  // 000000010CBC: D2890052 00011103
	s_and_b32 s82, s82, 0xffffff                               // 000000010CC4: 8652FF52 00FFFFFF
	s_cmp_lt_u32 s82, s66                                      // 000000010CCC: BF0A4252
	s_cselect_b32 s20, s36, s60                                // 000000010CD0: 85143C24
	v_readlane_b32 s82, v3, 9                                  // 000000010CD4: D2890052 00011303
	s_and_b32 s82, s82, 0xffffff                               // 000000010CDC: 8652FF52 00FFFFFF
	s_cmp_lt_u32 s82, s66                                      // 000000010CE4: BF0A4252
	s_cselect_b32 s21, s36, s60                                // 000000010CE8: 85153C24
	s_mov_b64 exec, s[20:21]                                   // 000000010CEC: BEFE0114
	global_atomic_add_f32 v6, v98, s[8:9] offset:8             // 000000010CF0: DD348008 00086206
	global_atomic_add_f32 v6, v102, s[8:9] offset:264          // 000000010CF8: DD348108 00086606
	s_mov_b64 exec, s[36:37]                                   // 000000010D00: BEFE0124
	v_mov_b32_e32 v6, v67                                      // 000000010D04: 7E0C0343
	s_mov_b64 s[60:61], 0                                      // 000000010D08: BEBC0180
	v_readlane_b32 s82, v3, 10                                 // 000000010D0C: D2890052 00011503
	s_and_b32 s82, s82, 0xffffff                               // 000000010D14: 8652FF52 00FFFFFF
	s_cmp_lt_u32 s82, s66                                      // 000000010D1C: BF0A4252
	s_cselect_b32 s20, s36, s60                                // 000000010D20: 85143C24
	v_readlane_b32 s82, v3, 11                                 // 000000010D24: D2890052 00011703
	s_and_b32 s82, s82, 0xffffff                               // 000000010D2C: 8652FF52 00FFFFFF
	s_cmp_lt_u32 s82, s66                                      // 000000010D34: BF0A4252
	s_cselect_b32 s21, s36, s60                                // 000000010D38: 85153C24
	s_mov_b64 exec, s[20:21]                                   // 000000010D3C: BEFE0114
	global_atomic_add_f32 v6, v99, s[8:9] offset:8             // 000000010D40: DD348008 00086306
	global_atomic_add_f32 v6, v103, s[8:9] offset:264          // 000000010D48: DD348108 00086706
	s_mov_b64 exec, s[36:37]                                   // 000000010D50: BEFE0124
	v_mov_b32_e32 v6, v68                                      // 000000010D54: 7E0C0344
	s_mov_b64 s[60:61], 0                                      // 000000010D58: BEBC0180
	v_readlane_b32 s82, v3, 12                                 // 000000010D5C: D2890052 00011903
	s_and_b32 s82, s82, 0xffffff                               // 000000010D64: 8652FF52 00FFFFFF
	s_cmp_lt_u32 s82, s66                                      // 000000010D6C: BF0A4252
	s_cselect_b32 s20, s36, s60                                // 000000010D70: 85143C24
	v_readlane_b32 s82, v3, 13                                 // 000000010D74: D2890052 00011B03
	s_and_b32 s82, s82, 0xffffff                               // 000000010D7C: 8652FF52 00FFFFFF
	s_cmp_lt_u32 s82, s66                                      // 000000010D84: BF0A4252
	s_cselect_b32 s21, s36, s60                                // 000000010D88: 85153C24
	s_mov_b64 exec, s[20:21]                                   // 000000010D8C: BEFE0114
	global_atomic_add_f32 v6, v106, s[8:9] offset:8            // 000000010D90: DD348008 00086A06
	global_atomic_add_f32 v6, v110, s[8:9] offset:264          // 000000010D98: DD348108 00086E06
	s_mov_b64 exec, s[36:37]                                   // 000000010DA0: BEFE0124
	v_mov_b32_e32 v6, v69                                      // 000000010DA4: 7E0C0345
	s_mov_b64 s[60:61], 0                                      // 000000010DA8: BEBC0180
	v_readlane_b32 s82, v3, 14                                 // 000000010DAC: D2890052 00011D03
	s_and_b32 s82, s82, 0xffffff                               // 000000010DB4: 8652FF52 00FFFFFF
	s_cmp_lt_u32 s82, s66                                      // 000000010DBC: BF0A4252
	s_cselect_b32 s20, s36, s60                                // 000000010DC0: 85143C24
	v_readlane_b32 s82, v3, 15                                 // 000000010DC4: D2890052 00011F03
	s_and_b32 s82, s82, 0xffffff                               // 000000010DCC: 8652FF52 00FFFFFF
	s_cmp_lt_u32 s82, s66                                      // 000000010DD4: BF0A4252
	s_cselect_b32 s21, s36, s60                                // 000000010DD8: 85153C24
	s_mov_b64 exec, s[20:21]                                   // 000000010DDC: BEFE0114
	global_atomic_add_f32 v6, v107, s[8:9] offset:8            // 000000010DE0: DD348008 00086B06
	global_atomic_add_f32 v6, v111, s[8:9] offset:264          // 000000010DE8: DD348108 00086F06
	s_mov_b64 exec, s[36:37]                                   // 000000010DF0: BEFE0124
	v_mov_b32_e32 v6, v70                                      // 000000010DF4: 7E0C0346
	s_mov_b64 s[60:61], 0                                      // 000000010DF8: BEBC0180
	v_readlane_b32 s82, v3, 16                                 // 000000010DFC: D2890052 00012103
	s_and_b32 s82, s82, 0xffffff                               // 000000010E04: 8652FF52 00FFFFFF
	s_cmp_lt_u32 s82, s66                                      // 000000010E0C: BF0A4252
	s_cselect_b32 s20, s36, s60                                // 000000010E10: 85143C24
	v_readlane_b32 s82, v3, 17                                 // 000000010E14: D2890052 00012303
	s_and_b32 s82, s82, 0xffffff                               // 000000010E1C: 8652FF52 00FFFFFF
	s_cmp_lt_u32 s82, s66                                      // 000000010E24: BF0A4252
	s_cselect_b32 s21, s36, s60                                // 000000010E28: 85153C24
	s_mov_b64 exec, s[20:21]                                   // 000000010E2C: BEFE0114
	global_atomic_add_f32 v6, v114, s[8:9] offset:8            // 000000010E30: DD348008 00087206
	global_atomic_add_f32 v6, v118, s[8:9] offset:264          // 000000010E38: DD348108 00087606
	s_mov_b64 exec, s[36:37]                                   // 000000010E40: BEFE0124
	v_mov_b32_e32 v6, v71                                      // 000000010E44: 7E0C0347
	s_mov_b64 s[60:61], 0                                      // 000000010E48: BEBC0180
	v_readlane_b32 s82, v3, 18                                 // 000000010E4C: D2890052 00012503
	s_and_b32 s82, s82, 0xffffff                               // 000000010E54: 8652FF52 00FFFFFF
	s_cmp_lt_u32 s82, s66                                      // 000000010E5C: BF0A4252
	s_cselect_b32 s20, s36, s60                                // 000000010E60: 85143C24
	v_readlane_b32 s82, v3, 19                                 // 000000010E64: D2890052 00012703
	s_and_b32 s82, s82, 0xffffff                               // 000000010E6C: 8652FF52 00FFFFFF
	s_cmp_lt_u32 s82, s66                                      // 000000010E74: BF0A4252
	s_cselect_b32 s21, s36, s60                                // 000000010E78: 85153C24
	s_mov_b64 exec, s[20:21]                                   // 000000010E7C: BEFE0114
	global_atomic_add_f32 v6, v115, s[8:9] offset:8            // 000000010E80: DD348008 00087306
	global_atomic_add_f32 v6, v119, s[8:9] offset:264          // 000000010E88: DD348108 00087706
	s_mov_b64 exec, s[36:37]                                   // 000000010E90: BEFE0124
	v_mov_b32_e32 v6, v72                                      // 000000010E94: 7E0C0348
	s_mov_b64 s[60:61], 0                                      // 000000010E98: BEBC0180
	v_readlane_b32 s82, v3, 20                                 // 000000010E9C: D2890052 00012903
	s_and_b32 s82, s82, 0xffffff                               // 000000010EA4: 8652FF52 00FFFFFF
	s_cmp_lt_u32 s82, s66                                      // 000000010EAC: BF0A4252
	s_cselect_b32 s20, s36, s60                                // 000000010EB0: 85143C24
	v_readlane_b32 s82, v3, 21                                 // 000000010EB4: D2890052 00012B03
	s_and_b32 s82, s82, 0xffffff                               // 000000010EBC: 8652FF52 00FFFFFF
	s_cmp_lt_u32 s82, s66                                      // 000000010EC4: BF0A4252
	s_cselect_b32 s21, s36, s60                                // 000000010EC8: 85153C24
	s_mov_b64 exec, s[20:21]                                   // 000000010ECC: BEFE0114
	global_atomic_add_f32 v6, v122, s[8:9] offset:8            // 000000010ED0: DD348008 00087A06
	global_atomic_add_f32 v6, v126, s[8:9] offset:264          // 000000010ED8: DD348108 00087E06
	s_mov_b64 exec, s[36:37]                                   // 000000010EE0: BEFE0124
	v_mov_b32_e32 v6, v73                                      // 000000010EE4: 7E0C0349
	s_mov_b64 s[60:61], 0                                      // 000000010EE8: BEBC0180
	v_readlane_b32 s82, v3, 22                                 // 000000010EEC: D2890052 00012D03
	s_and_b32 s82, s82, 0xffffff                               // 000000010EF4: 8652FF52 00FFFFFF
	s_cmp_lt_u32 s82, s66                                      // 000000010EFC: BF0A4252
	s_cselect_b32 s20, s36, s60                                // 000000010F00: 85143C24
	v_readlane_b32 s82, v3, 23                                 // 000000010F04: D2890052 00012F03
	s_and_b32 s82, s82, 0xffffff                               // 000000010F0C: 8652FF52 00FFFFFF
	s_cmp_lt_u32 s82, s66                                      // 000000010F14: BF0A4252
	s_cselect_b32 s21, s36, s60                                // 000000010F18: 85153C24
	s_mov_b64 exec, s[20:21]                                   // 000000010F1C: BEFE0114
	global_atomic_add_f32 v6, v123, s[8:9] offset:8            // 000000010F20: DD348008 00087B06
	global_atomic_add_f32 v6, v127, s[8:9] offset:264          // 000000010F28: DD348108 00087F06
	s_mov_b64 exec, s[36:37]                                   // 000000010F30: BEFE0124
	v_mov_b32_e32 v6, v74                                      // 000000010F34: 7E0C034A
	s_mov_b64 s[60:61], 0                                      // 000000010F38: BEBC0180
	v_readlane_b32 s82, v3, 24                                 // 000000010F3C: D2890052 00013103
	s_and_b32 s82, s82, 0xffffff                               // 000000010F44: 8652FF52 00FFFFFF
	s_cmp_lt_u32 s82, s66                                      // 000000010F4C: BF0A4252
	s_cselect_b32 s20, s36, s60                                // 000000010F50: 85143C24
	v_readlane_b32 s82, v3, 25                                 // 000000010F54: D2890052 00013303
	s_and_b32 s82, s82, 0xffffff                               // 000000010F5C: 8652FF52 00FFFFFF
	s_cmp_lt_u32 s82, s66                                      // 000000010F64: BF0A4252
	s_cselect_b32 s21, s36, s60                                // 000000010F68: 85153C24
	s_mov_b64 exec, s[20:21]                                   // 000000010F6C: BEFE0114
	global_atomic_add_f32 v6, v130, s[8:9] offset:8            // 000000010F70: DD348008 00088206
	global_atomic_add_f32 v6, v134, s[8:9] offset:264          // 000000010F78: DD348108 00088606
	s_mov_b64 exec, s[36:37]                                   // 000000010F80: BEFE0124
	v_mov_b32_e32 v6, v75                                      // 000000010F84: 7E0C034B
	s_mov_b64 s[60:61], 0                                      // 000000010F88: BEBC0180
	v_readlane_b32 s82, v3, 26                                 // 000000010F8C: D2890052 00013503
	s_and_b32 s82, s82, 0xffffff                               // 000000010F94: 8652FF52 00FFFFFF
	s_cmp_lt_u32 s82, s66                                      // 000000010F9C: BF0A4252
	s_cselect_b32 s20, s36, s60                                // 000000010FA0: 85143C24
	v_readlane_b32 s82, v3, 27                                 // 000000010FA4: D2890052 00013703
	s_and_b32 s82, s82, 0xffffff                               // 000000010FAC: 8652FF52 00FFFFFF
	s_cmp_lt_u32 s82, s66                                      // 000000010FB4: BF0A4252
	s_cselect_b32 s21, s36, s60                                // 000000010FB8: 85153C24
	s_mov_b64 exec, s[20:21]                                   // 000000010FBC: BEFE0114
	global_atomic_add_f32 v6, v131, s[8:9] offset:8            // 000000010FC0: DD348008 00088306
	global_atomic_add_f32 v6, v135, s[8:9] offset:264          // 000000010FC8: DD348108 00088706
	s_mov_b64 exec, s[36:37]                                   // 000000010FD0: BEFE0124
	v_mov_b32_e32 v6, v76                                      // 000000010FD4: 7E0C034C
	s_mov_b64 s[60:61], 0                                      // 000000010FD8: BEBC0180
	v_readlane_b32 s82, v3, 28                                 // 000000010FDC: D2890052 00013903
	s_and_b32 s82, s82, 0xffffff                               // 000000010FE4: 8652FF52 00FFFFFF
	s_cmp_lt_u32 s82, s66                                      // 000000010FEC: BF0A4252
	s_cselect_b32 s20, s36, s60                                // 000000010FF0: 85143C24
	v_readlane_b32 s82, v3, 29                                 // 000000010FF4: D2890052 00013B03
	s_and_b32 s82, s82, 0xffffff                               // 000000010FFC: 8652FF52 00FFFFFF
	s_cmp_lt_u32 s82, s66                                      // 000000011004: BF0A4252
	s_cselect_b32 s21, s36, s60                                // 000000011008: 85153C24
	s_mov_b64 exec, s[20:21]                                   // 00000001100C: BEFE0114
	global_atomic_add_f32 v6, v138, s[8:9] offset:8            // 000000011010: DD348008 00088A06
	global_atomic_add_f32 v6, v142, s[8:9] offset:264          // 000000011018: DD348108 00088E06
	s_mov_b64 exec, s[36:37]                                   // 000000011020: BEFE0124
	v_mov_b32_e32 v6, v77                                      // 000000011024: 7E0C034D
	s_mov_b64 s[60:61], 0                                      // 000000011028: BEBC0180
	v_readlane_b32 s82, v3, 30                                 // 00000001102C: D2890052 00013D03
	s_and_b32 s82, s82, 0xffffff                               // 000000011034: 8652FF52 00FFFFFF
	s_cmp_lt_u32 s82, s66                                      // 00000001103C: BF0A4252
	s_cselect_b32 s20, s36, s60                                // 000000011040: 85143C24
	v_readlane_b32 s82, v3, 31                                 // 000000011044: D2890052 00013F03
	s_and_b32 s82, s82, 0xffffff                               // 00000001104C: 8652FF52 00FFFFFF
	s_cmp_lt_u32 s82, s66                                      // 000000011054: BF0A4252
	s_cselect_b32 s21, s36, s60                                // 000000011058: 85153C24
	s_mov_b64 exec, s[20:21]                                   // 00000001105C: BEFE0114
	global_atomic_add_f32 v6, v139, s[8:9] offset:8            // 000000011060: DD348008 00088B06
	global_atomic_add_f32 v6, v143, s[8:9] offset:264          // 000000011068: DD348108 00088F06
	s_mov_b64 exec, s[36:37]                                   // 000000011070: BEFE0124
	ds_write_b64 v20, v[144:145]                               // 000000011074: D89A0000 00009014
	ds_write_b64 v20, v[148:149] offset:4352                   // 00000001107C: D89A1100 00009414
	ds_write_b64 v20, v[152:153] offset:8704                   // 000000011084: D89A2200 00009814
	ds_write_b64 v20, v[156:157] offset:13056                  // 00000001108C: D89A3300 00009C14
	ds_write_b64 v20, v[160:161] offset:17408                  // 000000011094: D89A4400 0000A014
	ds_write_b64 v20, v[164:165] offset:21760                  // 00000001109C: D89A5500 0000A414
	ds_write_b64 v20, v[168:169] offset:26112                  // 0000000110A4: D89A6600 0000A814
	ds_write_b64 v20, v[172:173] offset:30464                  // 0000000110AC: D89A7700 0000AC14
	ds_write_b64 v20, v[176:177] offset:2176                   // 0000000110B4: D89A0880 0000B014
	ds_write_b64 v20, v[180:181] offset:6528                   // 0000000110BC: D89A1980 0000B414
	ds_write_b64 v20, v[184:185] offset:10880                  // 0000000110C4: D89A2A80 0000B814
	ds_write_b64 v20, v[188:189] offset:15232                  // 0000000110CC: D89A3B80 0000BC14
	ds_write_b64 v20, v[192:193] offset:19584                  // 0000000110D4: D89A4C80 0000C014
	ds_write_b64 v20, v[196:197] offset:23936                  // 0000000110DC: D89A5D80 0000C414
	ds_write_b64 v20, v[200:201] offset:28288                  // 0000000110E4: D89A6E80 0000C814
	ds_write_b64 v20, v[204:205] offset:32640                  // 0000000110EC: D89A7F80 0000CC14
	s_waitcnt lgkmcnt(0)                                       // 0000000110F4: BF8CC07F
	s_barrier                                                  // 0000000110F8: BF8A0000
	ds_read_b32 v144, v21                                      // 0000000110FC: D86C0000 90000015
	ds_read_b32 v145, v21 offset:64                            // 000000011104: D86C0040 91000015
	ds_read_b32 v148, v21 offset:2176                          // 00000001110C: D86C0880 94000015
	ds_read_b32 v149, v21 offset:2240                          // 000000011114: D86C08C0 95000015
	ds_read_b32 v152, v21 offset:4352                          // 00000001111C: D86C1100 98000015
	ds_read_b32 v153, v21 offset:4416                          // 000000011124: D86C1140 99000015
	ds_read_b32 v156, v21 offset:6528                          // 00000001112C: D86C1980 9C000015
	ds_read_b32 v157, v21 offset:6592                          // 000000011134: D86C19C0 9D000015
	ds_read_b32 v160, v21 offset:8704                          // 00000001113C: D86C2200 A0000015
	ds_read_b32 v161, v21 offset:8768                          // 000000011144: D86C2240 A1000015
	ds_read_b32 v164, v21 offset:10880                         // 00000001114C: D86C2A80 A4000015
	ds_read_b32 v165, v21 offset:10944                         // 000000011154: D86C2AC0 A5000015
	ds_read_b32 v168, v21 offset:13056                         // 00000001115C: D86C3300 A8000015
	ds_read_b32 v169, v21 offset:13120                         // 000000011164: D86C3340 A9000015
	ds_read_b32 v172, v21 offset:15232                         // 00000001116C: D86C3B80 AC000015
	ds_read_b32 v173, v21 offset:15296                         // 000000011174: D86C3BC0 AD000015
	ds_read_b32 v176, v21 offset:17408                         // 00000001117C: D86C4400 B0000015
	ds_read_b32 v177, v21 offset:17472                         // 000000011184: D86C4440 B1000015
	ds_read_b32 v180, v21 offset:19584                         // 00000001118C: D86C4C80 B4000015
	ds_read_b32 v181, v21 offset:19648                         // 000000011194: D86C4CC0 B5000015
	ds_read_b32 v184, v21 offset:21760                         // 00000001119C: D86C5500 B8000015
	ds_read_b32 v185, v21 offset:21824                         // 0000000111A4: D86C5540 B9000015
	ds_read_b32 v188, v21 offset:23936                         // 0000000111AC: D86C5D80 BC000015
	ds_read_b32 v189, v21 offset:24000                         // 0000000111B4: D86C5DC0 BD000015
	ds_read_b32 v192, v21 offset:26112                         // 0000000111BC: D86C6600 C0000015
	ds_read_b32 v193, v21 offset:26176                         // 0000000111C4: D86C6640 C1000015
	ds_read_b32 v196, v21 offset:28288                         // 0000000111CC: D86C6E80 C4000015
	ds_read_b32 v197, v21 offset:28352                         // 0000000111D4: D86C6EC0 C5000015
	ds_read_b32 v200, v21 offset:30464                         // 0000000111DC: D86C7700 C8000015
	ds_read_b32 v201, v21 offset:30528                         // 0000000111E4: D86C7740 C9000015
	ds_read_b32 v204, v21 offset:32640                         // 0000000111EC: D86C7F80 CC000015
	ds_read_b32 v205, v21 offset:32704                         // 0000000111F4: D86C7FC0 CD000015
	s_mul_i32 s60, s65, 4                                      // 0000000111FC: 923C8441
	s_add_u32 s8, s60, s8                                      // 000000011200: 8008083C
	s_addc_u32 s9, 0, s9                                       // 000000011204: 82090980
	s_waitcnt lgkmcnt(0)                                       // 000000011208: BF8CC07F
	v_mov_b32_e32 v7, 0                                        // 00000001120C: 7E0E0280
	s_mov_b64 exec, s[36:37]                                   // 000000011210: BEFE0124
	v_mov_b32_e32 v6, v62                                      // 000000011214: 7E0C033E
	s_mov_b64 s[60:61], 0                                      // 000000011218: BEBC0180
	v_readlane_b32 s82, v3, 0                                  // 00000001121C: D2890052 00010103
	s_and_b32 s82, s82, 0xffffff                               // 000000011224: 8652FF52 00FFFFFF
	s_cmp_lt_u32 s82, s66                                      // 00000001122C: BF0A4252
	s_cselect_b32 s20, s36, s60                                // 000000011230: 85143C24
	v_readlane_b32 s82, v3, 1                                  // 000000011234: D2890052 00010303
	s_and_b32 s82, s82, 0xffffff                               // 00000001123C: 8652FF52 00FFFFFF
	s_cmp_lt_u32 s82, s66                                      // 000000011244: BF0A4252
	s_cselect_b32 s21, s36, s60                                // 000000011248: 85153C24
	s_mov_b64 exec, s[20:21]                                   // 00000001124C: BEFE0114
	global_atomic_add_f32 v6, v144, s[8:9]                     // 000000011250: DD348000 00089006
	global_atomic_add_f32 v6, v148, s[8:9] offset:256          // 000000011258: DD348100 00089406
	s_mov_b64 exec, s[36:37]                                   // 000000011260: BEFE0124
	v_mov_b32_e32 v6, v63                                      // 000000011264: 7E0C033F
	s_mov_b64 s[60:61], 0                                      // 000000011268: BEBC0180
	v_readlane_b32 s82, v3, 2                                  // 00000001126C: D2890052 00010503
	s_and_b32 s82, s82, 0xffffff                               // 000000011274: 8652FF52 00FFFFFF
	s_cmp_lt_u32 s82, s66                                      // 00000001127C: BF0A4252
	s_cselect_b32 s20, s36, s60                                // 000000011280: 85143C24
	v_readlane_b32 s82, v3, 3                                  // 000000011284: D2890052 00010703
	s_and_b32 s82, s82, 0xffffff                               // 00000001128C: 8652FF52 00FFFFFF
	s_cmp_lt_u32 s82, s66                                      // 000000011294: BF0A4252
	s_cselect_b32 s21, s36, s60                                // 000000011298: 85153C24
	s_mov_b64 exec, s[20:21]                                   // 00000001129C: BEFE0114
	global_atomic_add_f32 v6, v145, s[8:9]                     // 0000000112A0: DD348000 00089106
	global_atomic_add_f32 v6, v149, s[8:9] offset:256          // 0000000112A8: DD348100 00089506
	s_mov_b64 exec, s[36:37]                                   // 0000000112B0: BEFE0124
	v_mov_b32_e32 v6, v64                                      // 0000000112B4: 7E0C0340
	s_mov_b64 s[60:61], 0                                      // 0000000112B8: BEBC0180
	v_readlane_b32 s82, v3, 4                                  // 0000000112BC: D2890052 00010903
	s_and_b32 s82, s82, 0xffffff                               // 0000000112C4: 8652FF52 00FFFFFF
	s_cmp_lt_u32 s82, s66                                      // 0000000112CC: BF0A4252
	s_cselect_b32 s20, s36, s60                                // 0000000112D0: 85143C24
	v_readlane_b32 s82, v3, 5                                  // 0000000112D4: D2890052 00010B03
	s_and_b32 s82, s82, 0xffffff                               // 0000000112DC: 8652FF52 00FFFFFF
	s_cmp_lt_u32 s82, s66                                      // 0000000112E4: BF0A4252
	s_cselect_b32 s21, s36, s60                                // 0000000112E8: 85153C24
	s_mov_b64 exec, s[20:21]                                   // 0000000112EC: BEFE0114
	global_atomic_add_f32 v6, v152, s[8:9]                     // 0000000112F0: DD348000 00089806
	global_atomic_add_f32 v6, v156, s[8:9] offset:256          // 0000000112F8: DD348100 00089C06
	s_mov_b64 exec, s[36:37]                                   // 000000011300: BEFE0124
	v_mov_b32_e32 v6, v65                                      // 000000011304: 7E0C0341
	s_mov_b64 s[60:61], 0                                      // 000000011308: BEBC0180
	v_readlane_b32 s82, v3, 6                                  // 00000001130C: D2890052 00010D03
	s_and_b32 s82, s82, 0xffffff                               // 000000011314: 8652FF52 00FFFFFF
	s_cmp_lt_u32 s82, s66                                      // 00000001131C: BF0A4252
	s_cselect_b32 s20, s36, s60                                // 000000011320: 85143C24
	v_readlane_b32 s82, v3, 7                                  // 000000011324: D2890052 00010F03
	s_and_b32 s82, s82, 0xffffff                               // 00000001132C: 8652FF52 00FFFFFF
	s_cmp_lt_u32 s82, s66                                      // 000000011334: BF0A4252
	s_cselect_b32 s21, s36, s60                                // 000000011338: 85153C24
	s_mov_b64 exec, s[20:21]                                   // 00000001133C: BEFE0114
	global_atomic_add_f32 v6, v153, s[8:9]                     // 000000011340: DD348000 00089906
	global_atomic_add_f32 v6, v157, s[8:9] offset:256          // 000000011348: DD348100 00089D06
	s_mov_b64 exec, s[36:37]                                   // 000000011350: BEFE0124
	v_mov_b32_e32 v6, v66                                      // 000000011354: 7E0C0342
	s_mov_b64 s[60:61], 0                                      // 000000011358: BEBC0180
	v_readlane_b32 s82, v3, 8                                  // 00000001135C: D2890052 00011103
	s_and_b32 s82, s82, 0xffffff                               // 000000011364: 8652FF52 00FFFFFF
	s_cmp_lt_u32 s82, s66                                      // 00000001136C: BF0A4252
	s_cselect_b32 s20, s36, s60                                // 000000011370: 85143C24
	v_readlane_b32 s82, v3, 9                                  // 000000011374: D2890052 00011303
	s_and_b32 s82, s82, 0xffffff                               // 00000001137C: 8652FF52 00FFFFFF
	s_cmp_lt_u32 s82, s66                                      // 000000011384: BF0A4252
	s_cselect_b32 s21, s36, s60                                // 000000011388: 85153C24
	s_mov_b64 exec, s[20:21]                                   // 00000001138C: BEFE0114
	global_atomic_add_f32 v6, v160, s[8:9]                     // 000000011390: DD348000 0008A006
	global_atomic_add_f32 v6, v164, s[8:9] offset:256          // 000000011398: DD348100 0008A406
	s_mov_b64 exec, s[36:37]                                   // 0000000113A0: BEFE0124
	v_mov_b32_e32 v6, v67                                      // 0000000113A4: 7E0C0343
	s_mov_b64 s[60:61], 0                                      // 0000000113A8: BEBC0180
	v_readlane_b32 s82, v3, 10                                 // 0000000113AC: D2890052 00011503
	s_and_b32 s82, s82, 0xffffff                               // 0000000113B4: 8652FF52 00FFFFFF
	s_cmp_lt_u32 s82, s66                                      // 0000000113BC: BF0A4252
	s_cselect_b32 s20, s36, s60                                // 0000000113C0: 85143C24
	v_readlane_b32 s82, v3, 11                                 // 0000000113C4: D2890052 00011703
	s_and_b32 s82, s82, 0xffffff                               // 0000000113CC: 8652FF52 00FFFFFF
	s_cmp_lt_u32 s82, s66                                      // 0000000113D4: BF0A4252
	s_cselect_b32 s21, s36, s60                                // 0000000113D8: 85153C24
	s_mov_b64 exec, s[20:21]                                   // 0000000113DC: BEFE0114
	global_atomic_add_f32 v6, v161, s[8:9]                     // 0000000113E0: DD348000 0008A106
	global_atomic_add_f32 v6, v165, s[8:9] offset:256          // 0000000113E8: DD348100 0008A506
	s_mov_b64 exec, s[36:37]                                   // 0000000113F0: BEFE0124
	v_mov_b32_e32 v6, v68                                      // 0000000113F4: 7E0C0344
	s_mov_b64 s[60:61], 0                                      // 0000000113F8: BEBC0180
	v_readlane_b32 s82, v3, 12                                 // 0000000113FC: D2890052 00011903
	s_and_b32 s82, s82, 0xffffff                               // 000000011404: 8652FF52 00FFFFFF
	s_cmp_lt_u32 s82, s66                                      // 00000001140C: BF0A4252
	s_cselect_b32 s20, s36, s60                                // 000000011410: 85143C24
	v_readlane_b32 s82, v3, 13                                 // 000000011414: D2890052 00011B03
	s_and_b32 s82, s82, 0xffffff                               // 00000001141C: 8652FF52 00FFFFFF
	s_cmp_lt_u32 s82, s66                                      // 000000011424: BF0A4252
	s_cselect_b32 s21, s36, s60                                // 000000011428: 85153C24
	s_mov_b64 exec, s[20:21]                                   // 00000001142C: BEFE0114
	global_atomic_add_f32 v6, v168, s[8:9]                     // 000000011430: DD348000 0008A806
	global_atomic_add_f32 v6, v172, s[8:9] offset:256          // 000000011438: DD348100 0008AC06
	s_mov_b64 exec, s[36:37]                                   // 000000011440: BEFE0124
	v_mov_b32_e32 v6, v69                                      // 000000011444: 7E0C0345
	s_mov_b64 s[60:61], 0                                      // 000000011448: BEBC0180
	v_readlane_b32 s82, v3, 14                                 // 00000001144C: D2890052 00011D03
	s_and_b32 s82, s82, 0xffffff                               // 000000011454: 8652FF52 00FFFFFF
	s_cmp_lt_u32 s82, s66                                      // 00000001145C: BF0A4252
	s_cselect_b32 s20, s36, s60                                // 000000011460: 85143C24
	v_readlane_b32 s82, v3, 15                                 // 000000011464: D2890052 00011F03
	s_and_b32 s82, s82, 0xffffff                               // 00000001146C: 8652FF52 00FFFFFF
	s_cmp_lt_u32 s82, s66                                      // 000000011474: BF0A4252
	s_cselect_b32 s21, s36, s60                                // 000000011478: 85153C24
	s_mov_b64 exec, s[20:21]                                   // 00000001147C: BEFE0114
	global_atomic_add_f32 v6, v169, s[8:9]                     // 000000011480: DD348000 0008A906
	global_atomic_add_f32 v6, v173, s[8:9] offset:256          // 000000011488: DD348100 0008AD06
	s_mov_b64 exec, s[36:37]                                   // 000000011490: BEFE0124
	v_mov_b32_e32 v6, v70                                      // 000000011494: 7E0C0346
	s_mov_b64 s[60:61], 0                                      // 000000011498: BEBC0180
	v_readlane_b32 s82, v3, 16                                 // 00000001149C: D2890052 00012103
	s_and_b32 s82, s82, 0xffffff                               // 0000000114A4: 8652FF52 00FFFFFF
	s_cmp_lt_u32 s82, s66                                      // 0000000114AC: BF0A4252
	s_cselect_b32 s20, s36, s60                                // 0000000114B0: 85143C24
	v_readlane_b32 s82, v3, 17                                 // 0000000114B4: D2890052 00012303
	s_and_b32 s82, s82, 0xffffff                               // 0000000114BC: 8652FF52 00FFFFFF
	s_cmp_lt_u32 s82, s66                                      // 0000000114C4: BF0A4252
	s_cselect_b32 s21, s36, s60                                // 0000000114C8: 85153C24
	s_mov_b64 exec, s[20:21]                                   // 0000000114CC: BEFE0114
	global_atomic_add_f32 v6, v176, s[8:9]                     // 0000000114D0: DD348000 0008B006
	global_atomic_add_f32 v6, v180, s[8:9] offset:256          // 0000000114D8: DD348100 0008B406
	s_mov_b64 exec, s[36:37]                                   // 0000000114E0: BEFE0124
	v_mov_b32_e32 v6, v71                                      // 0000000114E4: 7E0C0347
	s_mov_b64 s[60:61], 0                                      // 0000000114E8: BEBC0180
	v_readlane_b32 s82, v3, 18                                 // 0000000114EC: D2890052 00012503
	s_and_b32 s82, s82, 0xffffff                               // 0000000114F4: 8652FF52 00FFFFFF
	s_cmp_lt_u32 s82, s66                                      // 0000000114FC: BF0A4252
	s_cselect_b32 s20, s36, s60                                // 000000011500: 85143C24
	v_readlane_b32 s82, v3, 19                                 // 000000011504: D2890052 00012703
	s_and_b32 s82, s82, 0xffffff                               // 00000001150C: 8652FF52 00FFFFFF
	s_cmp_lt_u32 s82, s66                                      // 000000011514: BF0A4252
	s_cselect_b32 s21, s36, s60                                // 000000011518: 85153C24
	s_mov_b64 exec, s[20:21]                                   // 00000001151C: BEFE0114
	global_atomic_add_f32 v6, v177, s[8:9]                     // 000000011520: DD348000 0008B106
	global_atomic_add_f32 v6, v181, s[8:9] offset:256          // 000000011528: DD348100 0008B506
	s_mov_b64 exec, s[36:37]                                   // 000000011530: BEFE0124
	v_mov_b32_e32 v6, v72                                      // 000000011534: 7E0C0348
	s_mov_b64 s[60:61], 0                                      // 000000011538: BEBC0180
	v_readlane_b32 s82, v3, 20                                 // 00000001153C: D2890052 00012903
	s_and_b32 s82, s82, 0xffffff                               // 000000011544: 8652FF52 00FFFFFF
	s_cmp_lt_u32 s82, s66                                      // 00000001154C: BF0A4252
	s_cselect_b32 s20, s36, s60                                // 000000011550: 85143C24
	v_readlane_b32 s82, v3, 21                                 // 000000011554: D2890052 00012B03
	s_and_b32 s82, s82, 0xffffff                               // 00000001155C: 8652FF52 00FFFFFF
	s_cmp_lt_u32 s82, s66                                      // 000000011564: BF0A4252
	s_cselect_b32 s21, s36, s60                                // 000000011568: 85153C24
	s_mov_b64 exec, s[20:21]                                   // 00000001156C: BEFE0114
	global_atomic_add_f32 v6, v184, s[8:9]                     // 000000011570: DD348000 0008B806
	global_atomic_add_f32 v6, v188, s[8:9] offset:256          // 000000011578: DD348100 0008BC06
	s_mov_b64 exec, s[36:37]                                   // 000000011580: BEFE0124
	v_mov_b32_e32 v6, v73                                      // 000000011584: 7E0C0349
	s_mov_b64 s[60:61], 0                                      // 000000011588: BEBC0180
	v_readlane_b32 s82, v3, 22                                 // 00000001158C: D2890052 00012D03
	s_and_b32 s82, s82, 0xffffff                               // 000000011594: 8652FF52 00FFFFFF
	s_cmp_lt_u32 s82, s66                                      // 00000001159C: BF0A4252
	s_cselect_b32 s20, s36, s60                                // 0000000115A0: 85143C24
	v_readlane_b32 s82, v3, 23                                 // 0000000115A4: D2890052 00012F03
	s_and_b32 s82, s82, 0xffffff                               // 0000000115AC: 8652FF52 00FFFFFF
	s_cmp_lt_u32 s82, s66                                      // 0000000115B4: BF0A4252
	s_cselect_b32 s21, s36, s60                                // 0000000115B8: 85153C24
	s_mov_b64 exec, s[20:21]                                   // 0000000115BC: BEFE0114
	global_atomic_add_f32 v6, v185, s[8:9]                     // 0000000115C0: DD348000 0008B906
	global_atomic_add_f32 v6, v189, s[8:9] offset:256          // 0000000115C8: DD348100 0008BD06
	s_mov_b64 exec, s[36:37]                                   // 0000000115D0: BEFE0124
	v_mov_b32_e32 v6, v74                                      // 0000000115D4: 7E0C034A
	s_mov_b64 s[60:61], 0                                      // 0000000115D8: BEBC0180
	v_readlane_b32 s82, v3, 24                                 // 0000000115DC: D2890052 00013103
	s_and_b32 s82, s82, 0xffffff                               // 0000000115E4: 8652FF52 00FFFFFF
	s_cmp_lt_u32 s82, s66                                      // 0000000115EC: BF0A4252
	s_cselect_b32 s20, s36, s60                                // 0000000115F0: 85143C24
	v_readlane_b32 s82, v3, 25                                 // 0000000115F4: D2890052 00013303
	s_and_b32 s82, s82, 0xffffff                               // 0000000115FC: 8652FF52 00FFFFFF
	s_cmp_lt_u32 s82, s66                                      // 000000011604: BF0A4252
	s_cselect_b32 s21, s36, s60                                // 000000011608: 85153C24
	s_mov_b64 exec, s[20:21]                                   // 00000001160C: BEFE0114
	global_atomic_add_f32 v6, v192, s[8:9]                     // 000000011610: DD348000 0008C006
	global_atomic_add_f32 v6, v196, s[8:9] offset:256          // 000000011618: DD348100 0008C406
	s_mov_b64 exec, s[36:37]                                   // 000000011620: BEFE0124
	v_mov_b32_e32 v6, v75                                      // 000000011624: 7E0C034B
	s_mov_b64 s[60:61], 0                                      // 000000011628: BEBC0180
	v_readlane_b32 s82, v3, 26                                 // 00000001162C: D2890052 00013503
	s_and_b32 s82, s82, 0xffffff                               // 000000011634: 8652FF52 00FFFFFF
	s_cmp_lt_u32 s82, s66                                      // 00000001163C: BF0A4252
	s_cselect_b32 s20, s36, s60                                // 000000011640: 85143C24
	v_readlane_b32 s82, v3, 27                                 // 000000011644: D2890052 00013703
	s_and_b32 s82, s82, 0xffffff                               // 00000001164C: 8652FF52 00FFFFFF
	s_cmp_lt_u32 s82, s66                                      // 000000011654: BF0A4252
	s_cselect_b32 s21, s36, s60                                // 000000011658: 85153C24
	s_mov_b64 exec, s[20:21]                                   // 00000001165C: BEFE0114
	global_atomic_add_f32 v6, v193, s[8:9]                     // 000000011660: DD348000 0008C106
	global_atomic_add_f32 v6, v197, s[8:9] offset:256          // 000000011668: DD348100 0008C506
	s_mov_b64 exec, s[36:37]                                   // 000000011670: BEFE0124
	v_mov_b32_e32 v6, v76                                      // 000000011674: 7E0C034C
	s_mov_b64 s[60:61], 0                                      // 000000011678: BEBC0180
	v_readlane_b32 s82, v3, 28                                 // 00000001167C: D2890052 00013903
	s_and_b32 s82, s82, 0xffffff                               // 000000011684: 8652FF52 00FFFFFF
	s_cmp_lt_u32 s82, s66                                      // 00000001168C: BF0A4252
	s_cselect_b32 s20, s36, s60                                // 000000011690: 85143C24
	v_readlane_b32 s82, v3, 29                                 // 000000011694: D2890052 00013B03
	s_and_b32 s82, s82, 0xffffff                               // 00000001169C: 8652FF52 00FFFFFF
	s_cmp_lt_u32 s82, s66                                      // 0000000116A4: BF0A4252
	s_cselect_b32 s21, s36, s60                                // 0000000116A8: 85153C24
	s_mov_b64 exec, s[20:21]                                   // 0000000116AC: BEFE0114
	global_atomic_add_f32 v6, v200, s[8:9]                     // 0000000116B0: DD348000 0008C806
	global_atomic_add_f32 v6, v204, s[8:9] offset:256          // 0000000116B8: DD348100 0008CC06
	s_mov_b64 exec, s[36:37]                                   // 0000000116C0: BEFE0124
	v_mov_b32_e32 v6, v77                                      // 0000000116C4: 7E0C034D
	s_mov_b64 s[60:61], 0                                      // 0000000116C8: BEBC0180
	v_readlane_b32 s82, v3, 30                                 // 0000000116CC: D2890052 00013D03
	s_and_b32 s82, s82, 0xffffff                               // 0000000116D4: 8652FF52 00FFFFFF
	s_cmp_lt_u32 s82, s66                                      // 0000000116DC: BF0A4252
	s_cselect_b32 s20, s36, s60                                // 0000000116E0: 85143C24
	v_readlane_b32 s82, v3, 31                                 // 0000000116E4: D2890052 00013F03
	s_and_b32 s82, s82, 0xffffff                               // 0000000116EC: 8652FF52 00FFFFFF
	s_cmp_lt_u32 s82, s66                                      // 0000000116F4: BF0A4252
	s_cselect_b32 s21, s36, s60                                // 0000000116F8: 85153C24
	s_mov_b64 exec, s[20:21]                                   // 0000000116FC: BEFE0114
	global_atomic_add_f32 v6, v201, s[8:9]                     // 000000011700: DD348000 0008C906
	global_atomic_add_f32 v6, v205, s[8:9] offset:256          // 000000011708: DD348100 0008CD06
	s_mov_b64 exec, s[36:37]                                   // 000000011710: BEFE0124
	ds_write_b64 v20, v[146:147]                               // 000000011714: D89A0000 00009214
	ds_write_b64 v20, v[150:151] offset:4352                   // 00000001171C: D89A1100 00009614
	ds_write_b64 v20, v[154:155] offset:8704                   // 000000011724: D89A2200 00009A14
	ds_write_b64 v20, v[158:159] offset:13056                  // 00000001172C: D89A3300 00009E14
	ds_write_b64 v20, v[162:163] offset:17408                  // 000000011734: D89A4400 0000A214
	ds_write_b64 v20, v[166:167] offset:21760                  // 00000001173C: D89A5500 0000A614
	ds_write_b64 v20, v[170:171] offset:26112                  // 000000011744: D89A6600 0000AA14
	ds_write_b64 v20, v[174:175] offset:30464                  // 00000001174C: D89A7700 0000AE14
	ds_write_b64 v20, v[178:179] offset:2176                   // 000000011754: D89A0880 0000B214
	ds_write_b64 v20, v[182:183] offset:6528                   // 00000001175C: D89A1980 0000B614
	ds_write_b64 v20, v[186:187] offset:10880                  // 000000011764: D89A2A80 0000BA14
	ds_write_b64 v20, v[190:191] offset:15232                  // 00000001176C: D89A3B80 0000BE14
	ds_write_b64 v20, v[194:195] offset:19584                  // 000000011774: D89A4C80 0000C214
	ds_write_b64 v20, v[198:199] offset:23936                  // 00000001177C: D89A5D80 0000C614
	ds_write_b64 v20, v[202:203] offset:28288                  // 000000011784: D89A6E80 0000CA14
	ds_write_b64 v20, v[206:207] offset:32640                  // 00000001178C: D89A7F80 0000CE14
	s_waitcnt lgkmcnt(0)                                       // 000000011794: BF8CC07F
	s_barrier                                                  // 000000011798: BF8A0000
	ds_read_b32 v146, v21                                      // 00000001179C: D86C0000 92000015
	ds_read_b32 v147, v21 offset:64                            // 0000000117A4: D86C0040 93000015
	ds_read_b32 v150, v21 offset:2176                          // 0000000117AC: D86C0880 96000015
	ds_read_b32 v151, v21 offset:2240                          // 0000000117B4: D86C08C0 97000015
	ds_read_b32 v154, v21 offset:4352                          // 0000000117BC: D86C1100 9A000015
	ds_read_b32 v155, v21 offset:4416                          // 0000000117C4: D86C1140 9B000015
	ds_read_b32 v158, v21 offset:6528                          // 0000000117CC: D86C1980 9E000015
	ds_read_b32 v159, v21 offset:6592                          // 0000000117D4: D86C19C0 9F000015
	ds_read_b32 v162, v21 offset:8704                          // 0000000117DC: D86C2200 A2000015
	ds_read_b32 v163, v21 offset:8768                          // 0000000117E4: D86C2240 A3000015
	ds_read_b32 v166, v21 offset:10880                         // 0000000117EC: D86C2A80 A6000015
	ds_read_b32 v167, v21 offset:10944                         // 0000000117F4: D86C2AC0 A7000015
	ds_read_b32 v170, v21 offset:13056                         // 0000000117FC: D86C3300 AA000015
	ds_read_b32 v171, v21 offset:13120                         // 000000011804: D86C3340 AB000015
	ds_read_b32 v174, v21 offset:15232                         // 00000001180C: D86C3B80 AE000015
	ds_read_b32 v175, v21 offset:15296                         // 000000011814: D86C3BC0 AF000015
	ds_read_b32 v178, v21 offset:17408                         // 00000001181C: D86C4400 B2000015
	ds_read_b32 v179, v21 offset:17472                         // 000000011824: D86C4440 B3000015
	ds_read_b32 v182, v21 offset:19584                         // 00000001182C: D86C4C80 B6000015
	ds_read_b32 v183, v21 offset:19648                         // 000000011834: D86C4CC0 B7000015
	ds_read_b32 v186, v21 offset:21760                         // 00000001183C: D86C5500 BA000015
	ds_read_b32 v187, v21 offset:21824                         // 000000011844: D86C5540 BB000015
	ds_read_b32 v190, v21 offset:23936                         // 00000001184C: D86C5D80 BE000015
	ds_read_b32 v191, v21 offset:24000                         // 000000011854: D86C5DC0 BF000015
	ds_read_b32 v194, v21 offset:26112                         // 00000001185C: D86C6600 C2000015
	ds_read_b32 v195, v21 offset:26176                         // 000000011864: D86C6640 C3000015
	ds_read_b32 v198, v21 offset:28288                         // 00000001186C: D86C6E80 C6000015
	ds_read_b32 v199, v21 offset:28352                         // 000000011874: D86C6EC0 C7000015
	ds_read_b32 v202, v21 offset:30464                         // 00000001187C: D86C7700 CA000015
	ds_read_b32 v203, v21 offset:30528                         // 000000011884: D86C7740 CB000015
	ds_read_b32 v206, v21 offset:32640                         // 00000001188C: D86C7F80 CE000015
	ds_read_b32 v207, v21 offset:32704                         // 000000011894: D86C7FC0 CF000015
	s_waitcnt lgkmcnt(0)                                       // 00000001189C: BF8CC07F
	v_mov_b32_e32 v7, 0                                        // 0000000118A0: 7E0E0280
	s_mov_b64 exec, s[36:37]                                   // 0000000118A4: BEFE0124
	v_mov_b32_e32 v6, v62                                      // 0000000118A8: 7E0C033E
	s_mov_b64 s[60:61], 0                                      // 0000000118AC: BEBC0180
	v_readlane_b32 s82, v3, 0                                  // 0000000118B0: D2890052 00010103
	s_and_b32 s82, s82, 0xffffff                               // 0000000118B8: 8652FF52 00FFFFFF
	s_cmp_lt_u32 s82, s66                                      // 0000000118C0: BF0A4252
	s_cselect_b32 s20, s36, s60                                // 0000000118C4: 85143C24
	v_readlane_b32 s82, v3, 1                                  // 0000000118C8: D2890052 00010303
	s_and_b32 s82, s82, 0xffffff                               // 0000000118D0: 8652FF52 00FFFFFF
	s_cmp_lt_u32 s82, s66                                      // 0000000118D8: BF0A4252
	s_cselect_b32 s21, s36, s60                                // 0000000118DC: 85153C24
	s_mov_b64 exec, s[20:21]                                   // 0000000118E0: BEFE0114
	global_atomic_add_f32 v6, v146, s[8:9] offset:8            // 0000000118E4: DD348008 00089206
	global_atomic_add_f32 v6, v150, s[8:9] offset:264          // 0000000118EC: DD348108 00089606
	s_mov_b64 exec, s[36:37]                                   // 0000000118F4: BEFE0124
	v_mov_b32_e32 v6, v63                                      // 0000000118F8: 7E0C033F
	s_mov_b64 s[60:61], 0                                      // 0000000118FC: BEBC0180
	v_readlane_b32 s82, v3, 2                                  // 000000011900: D2890052 00010503
	s_and_b32 s82, s82, 0xffffff                               // 000000011908: 8652FF52 00FFFFFF
	s_cmp_lt_u32 s82, s66                                      // 000000011910: BF0A4252
	s_cselect_b32 s20, s36, s60                                // 000000011914: 85143C24
	v_readlane_b32 s82, v3, 3                                  // 000000011918: D2890052 00010703
	s_and_b32 s82, s82, 0xffffff                               // 000000011920: 8652FF52 00FFFFFF
	s_cmp_lt_u32 s82, s66                                      // 000000011928: BF0A4252
	s_cselect_b32 s21, s36, s60                                // 00000001192C: 85153C24
	s_mov_b64 exec, s[20:21]                                   // 000000011930: BEFE0114
	global_atomic_add_f32 v6, v147, s[8:9] offset:8            // 000000011934: DD348008 00089306
	global_atomic_add_f32 v6, v151, s[8:9] offset:264          // 00000001193C: DD348108 00089706
	s_mov_b64 exec, s[36:37]                                   // 000000011944: BEFE0124
	v_mov_b32_e32 v6, v64                                      // 000000011948: 7E0C0340
	s_mov_b64 s[60:61], 0                                      // 00000001194C: BEBC0180
	v_readlane_b32 s82, v3, 4                                  // 000000011950: D2890052 00010903
	s_and_b32 s82, s82, 0xffffff                               // 000000011958: 8652FF52 00FFFFFF
	s_cmp_lt_u32 s82, s66                                      // 000000011960: BF0A4252
	s_cselect_b32 s20, s36, s60                                // 000000011964: 85143C24
	v_readlane_b32 s82, v3, 5                                  // 000000011968: D2890052 00010B03
	s_and_b32 s82, s82, 0xffffff                               // 000000011970: 8652FF52 00FFFFFF
	s_cmp_lt_u32 s82, s66                                      // 000000011978: BF0A4252
	s_cselect_b32 s21, s36, s60                                // 00000001197C: 85153C24
	s_mov_b64 exec, s[20:21]                                   // 000000011980: BEFE0114
	global_atomic_add_f32 v6, v154, s[8:9] offset:8            // 000000011984: DD348008 00089A06
	global_atomic_add_f32 v6, v158, s[8:9] offset:264          // 00000001198C: DD348108 00089E06
	s_mov_b64 exec, s[36:37]                                   // 000000011994: BEFE0124
	v_mov_b32_e32 v6, v65                                      // 000000011998: 7E0C0341
	s_mov_b64 s[60:61], 0                                      // 00000001199C: BEBC0180
	v_readlane_b32 s82, v3, 6                                  // 0000000119A0: D2890052 00010D03
	s_and_b32 s82, s82, 0xffffff                               // 0000000119A8: 8652FF52 00FFFFFF
	s_cmp_lt_u32 s82, s66                                      // 0000000119B0: BF0A4252
	s_cselect_b32 s20, s36, s60                                // 0000000119B4: 85143C24
	v_readlane_b32 s82, v3, 7                                  // 0000000119B8: D2890052 00010F03
	s_and_b32 s82, s82, 0xffffff                               // 0000000119C0: 8652FF52 00FFFFFF
	s_cmp_lt_u32 s82, s66                                      // 0000000119C8: BF0A4252
	s_cselect_b32 s21, s36, s60                                // 0000000119CC: 85153C24
	s_mov_b64 exec, s[20:21]                                   // 0000000119D0: BEFE0114
	global_atomic_add_f32 v6, v155, s[8:9] offset:8            // 0000000119D4: DD348008 00089B06
	global_atomic_add_f32 v6, v159, s[8:9] offset:264          // 0000000119DC: DD348108 00089F06
	s_mov_b64 exec, s[36:37]                                   // 0000000119E4: BEFE0124
	v_mov_b32_e32 v6, v66                                      // 0000000119E8: 7E0C0342
	s_mov_b64 s[60:61], 0                                      // 0000000119EC: BEBC0180
	v_readlane_b32 s82, v3, 8                                  // 0000000119F0: D2890052 00011103
	s_and_b32 s82, s82, 0xffffff                               // 0000000119F8: 8652FF52 00FFFFFF
	s_cmp_lt_u32 s82, s66                                      // 000000011A00: BF0A4252
	s_cselect_b32 s20, s36, s60                                // 000000011A04: 85143C24
	v_readlane_b32 s82, v3, 9                                  // 000000011A08: D2890052 00011303
	s_and_b32 s82, s82, 0xffffff                               // 000000011A10: 8652FF52 00FFFFFF
	s_cmp_lt_u32 s82, s66                                      // 000000011A18: BF0A4252
	s_cselect_b32 s21, s36, s60                                // 000000011A1C: 85153C24
	s_mov_b64 exec, s[20:21]                                   // 000000011A20: BEFE0114
	global_atomic_add_f32 v6, v162, s[8:9] offset:8            // 000000011A24: DD348008 0008A206
	global_atomic_add_f32 v6, v166, s[8:9] offset:264          // 000000011A2C: DD348108 0008A606
	s_mov_b64 exec, s[36:37]                                   // 000000011A34: BEFE0124
	v_mov_b32_e32 v6, v67                                      // 000000011A38: 7E0C0343
	s_mov_b64 s[60:61], 0                                      // 000000011A3C: BEBC0180
	v_readlane_b32 s82, v3, 10                                 // 000000011A40: D2890052 00011503
	s_and_b32 s82, s82, 0xffffff                               // 000000011A48: 8652FF52 00FFFFFF
	s_cmp_lt_u32 s82, s66                                      // 000000011A50: BF0A4252
	s_cselect_b32 s20, s36, s60                                // 000000011A54: 85143C24
	v_readlane_b32 s82, v3, 11                                 // 000000011A58: D2890052 00011703
	s_and_b32 s82, s82, 0xffffff                               // 000000011A60: 8652FF52 00FFFFFF
	s_cmp_lt_u32 s82, s66                                      // 000000011A68: BF0A4252
	s_cselect_b32 s21, s36, s60                                // 000000011A6C: 85153C24
	s_mov_b64 exec, s[20:21]                                   // 000000011A70: BEFE0114
	global_atomic_add_f32 v6, v163, s[8:9] offset:8            // 000000011A74: DD348008 0008A306
	global_atomic_add_f32 v6, v167, s[8:9] offset:264          // 000000011A7C: DD348108 0008A706
	s_mov_b64 exec, s[36:37]                                   // 000000011A84: BEFE0124
	v_mov_b32_e32 v6, v68                                      // 000000011A88: 7E0C0344
	s_mov_b64 s[60:61], 0                                      // 000000011A8C: BEBC0180
	v_readlane_b32 s82, v3, 12                                 // 000000011A90: D2890052 00011903
	s_and_b32 s82, s82, 0xffffff                               // 000000011A98: 8652FF52 00FFFFFF
	s_cmp_lt_u32 s82, s66                                      // 000000011AA0: BF0A4252
	s_cselect_b32 s20, s36, s60                                // 000000011AA4: 85143C24
	v_readlane_b32 s82, v3, 13                                 // 000000011AA8: D2890052 00011B03
	s_and_b32 s82, s82, 0xffffff                               // 000000011AB0: 8652FF52 00FFFFFF
	s_cmp_lt_u32 s82, s66                                      // 000000011AB8: BF0A4252
	s_cselect_b32 s21, s36, s60                                // 000000011ABC: 85153C24
	s_mov_b64 exec, s[20:21]                                   // 000000011AC0: BEFE0114
	global_atomic_add_f32 v6, v170, s[8:9] offset:8            // 000000011AC4: DD348008 0008AA06
	global_atomic_add_f32 v6, v174, s[8:9] offset:264          // 000000011ACC: DD348108 0008AE06
	s_mov_b64 exec, s[36:37]                                   // 000000011AD4: BEFE0124
	v_mov_b32_e32 v6, v69                                      // 000000011AD8: 7E0C0345
	s_mov_b64 s[60:61], 0                                      // 000000011ADC: BEBC0180
	v_readlane_b32 s82, v3, 14                                 // 000000011AE0: D2890052 00011D03
	s_and_b32 s82, s82, 0xffffff                               // 000000011AE8: 8652FF52 00FFFFFF
	s_cmp_lt_u32 s82, s66                                      // 000000011AF0: BF0A4252
	s_cselect_b32 s20, s36, s60                                // 000000011AF4: 85143C24
	v_readlane_b32 s82, v3, 15                                 // 000000011AF8: D2890052 00011F03
	s_and_b32 s82, s82, 0xffffff                               // 000000011B00: 8652FF52 00FFFFFF
	s_cmp_lt_u32 s82, s66                                      // 000000011B08: BF0A4252
	s_cselect_b32 s21, s36, s60                                // 000000011B0C: 85153C24
	s_mov_b64 exec, s[20:21]                                   // 000000011B10: BEFE0114
	global_atomic_add_f32 v6, v171, s[8:9] offset:8            // 000000011B14: DD348008 0008AB06
	global_atomic_add_f32 v6, v175, s[8:9] offset:264          // 000000011B1C: DD348108 0008AF06
	s_mov_b64 exec, s[36:37]                                   // 000000011B24: BEFE0124
	v_mov_b32_e32 v6, v70                                      // 000000011B28: 7E0C0346
	s_mov_b64 s[60:61], 0                                      // 000000011B2C: BEBC0180
	v_readlane_b32 s82, v3, 16                                 // 000000011B30: D2890052 00012103
	s_and_b32 s82, s82, 0xffffff                               // 000000011B38: 8652FF52 00FFFFFF
	s_cmp_lt_u32 s82, s66                                      // 000000011B40: BF0A4252
	s_cselect_b32 s20, s36, s60                                // 000000011B44: 85143C24
	v_readlane_b32 s82, v3, 17                                 // 000000011B48: D2890052 00012303
	s_and_b32 s82, s82, 0xffffff                               // 000000011B50: 8652FF52 00FFFFFF
	s_cmp_lt_u32 s82, s66                                      // 000000011B58: BF0A4252
	s_cselect_b32 s21, s36, s60                                // 000000011B5C: 85153C24
	s_mov_b64 exec, s[20:21]                                   // 000000011B60: BEFE0114
	global_atomic_add_f32 v6, v178, s[8:9] offset:8            // 000000011B64: DD348008 0008B206
	global_atomic_add_f32 v6, v182, s[8:9] offset:264          // 000000011B6C: DD348108 0008B606
	s_mov_b64 exec, s[36:37]                                   // 000000011B74: BEFE0124
	v_mov_b32_e32 v6, v71                                      // 000000011B78: 7E0C0347
	s_mov_b64 s[60:61], 0                                      // 000000011B7C: BEBC0180
	v_readlane_b32 s82, v3, 18                                 // 000000011B80: D2890052 00012503
	s_and_b32 s82, s82, 0xffffff                               // 000000011B88: 8652FF52 00FFFFFF
	s_cmp_lt_u32 s82, s66                                      // 000000011B90: BF0A4252
	s_cselect_b32 s20, s36, s60                                // 000000011B94: 85143C24
	v_readlane_b32 s82, v3, 19                                 // 000000011B98: D2890052 00012703
	s_and_b32 s82, s82, 0xffffff                               // 000000011BA0: 8652FF52 00FFFFFF
	s_cmp_lt_u32 s82, s66                                      // 000000011BA8: BF0A4252
	s_cselect_b32 s21, s36, s60                                // 000000011BAC: 85153C24
	s_mov_b64 exec, s[20:21]                                   // 000000011BB0: BEFE0114
	global_atomic_add_f32 v6, v179, s[8:9] offset:8            // 000000011BB4: DD348008 0008B306
	global_atomic_add_f32 v6, v183, s[8:9] offset:264          // 000000011BBC: DD348108 0008B706
	s_mov_b64 exec, s[36:37]                                   // 000000011BC4: BEFE0124
	v_mov_b32_e32 v6, v72                                      // 000000011BC8: 7E0C0348
	s_mov_b64 s[60:61], 0                                      // 000000011BCC: BEBC0180
	v_readlane_b32 s82, v3, 20                                 // 000000011BD0: D2890052 00012903
	s_and_b32 s82, s82, 0xffffff                               // 000000011BD8: 8652FF52 00FFFFFF
	s_cmp_lt_u32 s82, s66                                      // 000000011BE0: BF0A4252
	s_cselect_b32 s20, s36, s60                                // 000000011BE4: 85143C24
	v_readlane_b32 s82, v3, 21                                 // 000000011BE8: D2890052 00012B03
	s_and_b32 s82, s82, 0xffffff                               // 000000011BF0: 8652FF52 00FFFFFF
	s_cmp_lt_u32 s82, s66                                      // 000000011BF8: BF0A4252
	s_cselect_b32 s21, s36, s60                                // 000000011BFC: 85153C24
	s_mov_b64 exec, s[20:21]                                   // 000000011C00: BEFE0114
	global_atomic_add_f32 v6, v186, s[8:9] offset:8            // 000000011C04: DD348008 0008BA06
	global_atomic_add_f32 v6, v190, s[8:9] offset:264          // 000000011C0C: DD348108 0008BE06
	s_mov_b64 exec, s[36:37]                                   // 000000011C14: BEFE0124
	v_mov_b32_e32 v6, v73                                      // 000000011C18: 7E0C0349
	s_mov_b64 s[60:61], 0                                      // 000000011C1C: BEBC0180
	v_readlane_b32 s82, v3, 22                                 // 000000011C20: D2890052 00012D03
	s_and_b32 s82, s82, 0xffffff                               // 000000011C28: 8652FF52 00FFFFFF
	s_cmp_lt_u32 s82, s66                                      // 000000011C30: BF0A4252
	s_cselect_b32 s20, s36, s60                                // 000000011C34: 85143C24
	v_readlane_b32 s82, v3, 23                                 // 000000011C38: D2890052 00012F03
	s_and_b32 s82, s82, 0xffffff                               // 000000011C40: 8652FF52 00FFFFFF
	s_cmp_lt_u32 s82, s66                                      // 000000011C48: BF0A4252
	s_cselect_b32 s21, s36, s60                                // 000000011C4C: 85153C24
	s_mov_b64 exec, s[20:21]                                   // 000000011C50: BEFE0114
	global_atomic_add_f32 v6, v187, s[8:9] offset:8            // 000000011C54: DD348008 0008BB06
	global_atomic_add_f32 v6, v191, s[8:9] offset:264          // 000000011C5C: DD348108 0008BF06
	s_mov_b64 exec, s[36:37]                                   // 000000011C64: BEFE0124
	v_mov_b32_e32 v6, v74                                      // 000000011C68: 7E0C034A
	s_mov_b64 s[60:61], 0                                      // 000000011C6C: BEBC0180
	v_readlane_b32 s82, v3, 24                                 // 000000011C70: D2890052 00013103
	s_and_b32 s82, s82, 0xffffff                               // 000000011C78: 8652FF52 00FFFFFF
	s_cmp_lt_u32 s82, s66                                      // 000000011C80: BF0A4252
	s_cselect_b32 s20, s36, s60                                // 000000011C84: 85143C24
	v_readlane_b32 s82, v3, 25                                 // 000000011C88: D2890052 00013303
	s_and_b32 s82, s82, 0xffffff                               // 000000011C90: 8652FF52 00FFFFFF
	s_cmp_lt_u32 s82, s66                                      // 000000011C98: BF0A4252
	s_cselect_b32 s21, s36, s60                                // 000000011C9C: 85153C24
	s_mov_b64 exec, s[20:21]                                   // 000000011CA0: BEFE0114
	global_atomic_add_f32 v6, v194, s[8:9] offset:8            // 000000011CA4: DD348008 0008C206
	global_atomic_add_f32 v6, v198, s[8:9] offset:264          // 000000011CAC: DD348108 0008C606
	s_mov_b64 exec, s[36:37]                                   // 000000011CB4: BEFE0124
	v_mov_b32_e32 v6, v75                                      // 000000011CB8: 7E0C034B
	s_mov_b64 s[60:61], 0                                      // 000000011CBC: BEBC0180
	v_readlane_b32 s82, v3, 26                                 // 000000011CC0: D2890052 00013503
	s_and_b32 s82, s82, 0xffffff                               // 000000011CC8: 8652FF52 00FFFFFF
	s_cmp_lt_u32 s82, s66                                      // 000000011CD0: BF0A4252
	s_cselect_b32 s20, s36, s60                                // 000000011CD4: 85143C24
	v_readlane_b32 s82, v3, 27                                 // 000000011CD8: D2890052 00013703
	s_and_b32 s82, s82, 0xffffff                               // 000000011CE0: 8652FF52 00FFFFFF
	s_cmp_lt_u32 s82, s66                                      // 000000011CE8: BF0A4252
	s_cselect_b32 s21, s36, s60                                // 000000011CEC: 85153C24
	s_mov_b64 exec, s[20:21]                                   // 000000011CF0: BEFE0114
	global_atomic_add_f32 v6, v195, s[8:9] offset:8            // 000000011CF4: DD348008 0008C306
	global_atomic_add_f32 v6, v199, s[8:9] offset:264          // 000000011CFC: DD348108 0008C706
	s_mov_b64 exec, s[36:37]                                   // 000000011D04: BEFE0124
	v_mov_b32_e32 v6, v76                                      // 000000011D08: 7E0C034C
	s_mov_b64 s[60:61], 0                                      // 000000011D0C: BEBC0180
	v_readlane_b32 s82, v3, 28                                 // 000000011D10: D2890052 00013903
	s_and_b32 s82, s82, 0xffffff                               // 000000011D18: 8652FF52 00FFFFFF
	s_cmp_lt_u32 s82, s66                                      // 000000011D20: BF0A4252
	s_cselect_b32 s20, s36, s60                                // 000000011D24: 85143C24
	v_readlane_b32 s82, v3, 29                                 // 000000011D28: D2890052 00013B03
	s_and_b32 s82, s82, 0xffffff                               // 000000011D30: 8652FF52 00FFFFFF
	s_cmp_lt_u32 s82, s66                                      // 000000011D38: BF0A4252
	s_cselect_b32 s21, s36, s60                                // 000000011D3C: 85153C24
	s_mov_b64 exec, s[20:21]                                   // 000000011D40: BEFE0114
	global_atomic_add_f32 v6, v202, s[8:9] offset:8            // 000000011D44: DD348008 0008CA06
	global_atomic_add_f32 v6, v206, s[8:9] offset:264          // 000000011D4C: DD348108 0008CE06
	s_mov_b64 exec, s[36:37]                                   // 000000011D54: BEFE0124
	v_mov_b32_e32 v6, v77                                      // 000000011D58: 7E0C034D
	s_mov_b64 s[60:61], 0                                      // 000000011D5C: BEBC0180
	v_readlane_b32 s82, v3, 30                                 // 000000011D60: D2890052 00013D03
	s_and_b32 s82, s82, 0xffffff                               // 000000011D68: 8652FF52 00FFFFFF
	s_cmp_lt_u32 s82, s66                                      // 000000011D70: BF0A4252
	s_cselect_b32 s20, s36, s60                                // 000000011D74: 85143C24
	v_readlane_b32 s82, v3, 31                                 // 000000011D78: D2890052 00013F03
	s_and_b32 s82, s82, 0xffffff                               // 000000011D80: 8652FF52 00FFFFFF
	s_cmp_lt_u32 s82, s66                                      // 000000011D88: BF0A4252
	s_cselect_b32 s21, s36, s60                                // 000000011D8C: 85153C24
	s_mov_b64 exec, s[20:21]                                   // 000000011D90: BEFE0114
	global_atomic_add_f32 v6, v203, s[8:9] offset:8            // 000000011D94: DD348008 0008CB06
	global_atomic_add_f32 v6, v207, s[8:9] offset:264          // 000000011D9C: DD348108 0008CF06
	s_mov_b64 exec, s[36:37]                                   // 000000011DA4: BEFE0124
	s_branch label_3CEE                                        // 000000011DA8: BF820000

0000000000011dac <label_3CEE>:
	s_waitcnt vmcnt(0) expcnt(0) lgkmcnt(0)                    // 000000011DAC: BF8C0000
	s_endpgm                                                   // 000000011DB0: BF810000
